;; amdgpu-corpus repo=ROCm/rocFFT kind=compiled arch=gfx950 opt=O3
	.text
	.amdgcn_target "amdgcn-amd-amdhsa--gfx950"
	.amdhsa_code_object_version 6
	.protected	bluestein_single_back_len4096_dim1_sp_op_CI_CI ; -- Begin function bluestein_single_back_len4096_dim1_sp_op_CI_CI
	.globl	bluestein_single_back_len4096_dim1_sp_op_CI_CI
	.p2align	8
	.type	bluestein_single_back_len4096_dim1_sp_op_CI_CI,@function
bluestein_single_back_len4096_dim1_sp_op_CI_CI: ; @bluestein_single_back_len4096_dim1_sp_op_CI_CI
; %bb.0:
	s_load_dwordx4 s[12:15], s[0:1], 0x28
	s_mov_b32 s3, 0
	s_waitcnt lgkmcnt(0)
	v_mov_b32_e32 v2, s12
	v_mov_b32_e32 v3, s13
	v_cmp_lt_u64_e32 vcc, s[2:3], v[2:3]
	s_and_saveexec_b64 s[4:5], vcc
	s_cbranch_execz .LBB0_2
; %bb.1:
	s_load_dwordx4 s[4:7], s[0:1], 0x18
	s_load_dwordx4 s[8:11], s[0:1], 0x0
	v_mov_b64_e32 v[90:91], s[2:3]
	v_mov_b32_e32 v2, s14
	v_mov_b32_e32 v3, s15
	s_waitcnt lgkmcnt(0)
	s_load_dwordx4 s[16:19], s[4:5], 0x0
	s_add_u32 s14, s8, 0x8000
	s_addc_u32 s15, s9, 0
	v_lshlrev_b32_e32 v1, 3, v0
	global_load_dwordx2 v[58:59], v1, s[8:9]
	s_waitcnt lgkmcnt(0)
	v_mad_u64_u32 v[4:5], s[2:3], s18, v90, 0
	v_mov_b32_e32 v6, v5
	v_mad_u64_u32 v[6:7], s[2:3], s19, v90, v[6:7]
	v_mov_b32_e32 v5, v6
	v_mad_u64_u32 v[6:7], s[2:3], s16, v0, 0
	v_mov_b32_e32 v8, v7
	v_mad_u64_u32 v[8:9], s[2:3], s17, v0, v[8:9]
	v_mov_b32_e32 v7, v8
	v_lshl_add_u64 v[2:3], v[4:5], 3, v[2:3]
	v_lshl_add_u64 v[2:3], v[6:7], 3, v[2:3]
	s_lshl_b64 s[2:3], s[16:17], 11
	global_load_dwordx2 v[4:5], v[2:3], off
	v_lshl_add_u64 v[2:3], v[2:3], 0, s[2:3]
	global_load_dwordx2 v[60:61], v1, s[8:9] offset:2048
	global_load_dwordx2 v[6:7], v[2:3], off
	v_lshl_add_u64 v[2:3], v[2:3], 0, s[2:3]
	global_load_dwordx2 v[8:9], v[2:3], off
	v_or_b32_e32 v113, 0x1000, v1
	v_lshl_add_u64 v[2:3], v[2:3], 0, s[2:3]
	v_or_b32_e32 v123, 0x1800, v1
	global_load_dwordx2 v[62:63], v113, s[8:9]
	global_load_dwordx2 v[10:11], v[2:3], off
	global_load_dwordx2 v[66:67], v123, s[8:9]
	v_lshl_add_u64 v[2:3], v[2:3], 0, s[2:3]
	global_load_dwordx2 v[12:13], v[2:3], off
	v_or_b32_e32 v124, 0x2000, v1
	v_lshl_add_u64 v[2:3], v[2:3], 0, s[2:3]
	v_or_b32_e32 v111, 0x2800, v1
	v_or_b32_e32 v115, 0x5800, v1
	global_load_dwordx2 v[64:65], v124, s[8:9]
	global_load_dwordx2 v[14:15], v[2:3], off
	v_lshl_add_u64 v[2:3], v[2:3], 0, s[2:3]
	global_load_dwordx2 v[82:83], v115, s[8:9]
	global_load_dwordx2 v[70:71], v111, s[8:9]
	global_load_dwordx2 v[16:17], v[2:3], off
	v_or_b32_e32 v117, 0x3000, v1
	v_lshl_add_u64 v[2:3], v[2:3], 0, s[2:3]
	v_or_b32_e32 v119, 0x3800, v1
	global_load_dwordx2 v[68:69], v117, s[8:9]
	global_load_dwordx2 v[74:75], v119, s[8:9]
	global_load_dwordx2 v[18:19], v[2:3], off
	v_lshl_add_u64 v[2:3], v[2:3], 0, s[2:3]
	global_load_dwordx2 v[20:21], v[2:3], off
	v_or_b32_e32 v121, 0x4000, v1
	global_load_dwordx2 v[72:73], v121, s[8:9]
	v_lshl_add_u64 v[2:3], v[2:3], 0, s[2:3]
	v_or_b32_e32 v103, 0x4800, v1
	global_load_dwordx2 v[22:23], v[2:3], off
	global_load_dwordx2 v[78:79], v103, s[8:9]
	v_lshl_add_u64 v[2:3], v[2:3], 0, s[2:3]
	global_load_dwordx2 v[24:25], v[2:3], off
	v_or_b32_e32 v105, 0x5000, v1
	global_load_dwordx2 v[76:77], v105, s[8:9]
	v_lshl_add_u64 v[2:3], v[2:3], 0, s[2:3]
	global_load_dwordx2 v[26:27], v[2:3], off
	v_lshl_add_u64 v[2:3], v[2:3], 0, s[2:3]
	global_load_dwordx2 v[28:29], v[2:3], off
	v_or_b32_e32 v107, 0x6000, v1
	v_lshl_add_u64 v[2:3], v[2:3], 0, s[2:3]
	v_or_b32_e32 v95, 0x6800, v1
	global_load_dwordx2 v[80:81], v107, s[8:9]
	global_load_dwordx2 v[30:31], v[2:3], off
	global_load_dwordx2 v[86:87], v95, s[8:9]
	v_lshl_add_u64 v[2:3], v[2:3], 0, s[2:3]
	v_or_b32_e32 v97, 0x7000, v1
	global_load_dwordx2 v[84:85], v97, s[8:9]
	v_or_b32_e32 v99, 0x7800, v1
	global_load_dwordx2 v[32:33], v[2:3], off
	v_lshl_add_u64 v[2:3], v[2:3], 0, s[2:3]
	global_load_dwordx2 v[88:89], v99, s[8:9]
	global_load_dwordx2 v[34:35], v[2:3], off
	s_load_dwordx4 s[4:7], s[6:7], 0x0
	s_mov_b32 s2, 0x3f3504f3
	s_mov_b32 s8, 0x3f6c835e
	s_mov_b32 s12, 0x3ec3ef15
	v_lshlrev_b32_e32 v91, 7, v0
	s_load_dwordx2 s[0:1], s[0:1], 0x38
	s_waitcnt vmcnt(30)
	v_mul_f32_e32 v2, v5, v59
	v_mul_f32_e32 v3, v4, v59
	v_fmac_f32_e32 v2, v4, v58
	v_fma_f32 v3, v5, v58, -v3
	s_waitcnt vmcnt(28)
	v_mul_f32_e32 v4, v7, v61
	v_mul_f32_e32 v5, v6, v61
	v_fmac_f32_e32 v4, v6, v60
	v_fma_f32 v5, v7, v60, -v5
	s_waitcnt vmcnt(26)
	v_mul_f32_e32 v6, v9, v63
	v_mul_f32_e32 v7, v8, v63
	ds_write2st64_b64 v1, v[2:3], v[4:5] offset1:4
	s_waitcnt vmcnt(24)
	v_mul_f32_e32 v2, v11, v67
	v_mul_f32_e32 v3, v10, v67
	v_fmac_f32_e32 v6, v8, v62
	v_fma_f32 v7, v9, v62, -v7
	v_fmac_f32_e32 v2, v10, v66
	v_fma_f32 v3, v11, v66, -v3
	ds_write2st64_b64 v1, v[6:7], v[2:3] offset0:8 offset1:12
	s_waitcnt vmcnt(22)
	v_mul_f32_e32 v2, v13, v65
	v_mul_f32_e32 v3, v12, v65
	v_fmac_f32_e32 v2, v12, v64
	s_waitcnt vmcnt(19)
	v_mul_f32_e32 v4, v15, v71
	v_mul_f32_e32 v5, v14, v71
	v_fma_f32 v3, v13, v64, -v3
	v_fmac_f32_e32 v4, v14, v70
	v_fma_f32 v5, v15, v70, -v5
	ds_write2st64_b64 v1, v[2:3], v[4:5] offset0:16 offset1:20
	s_waitcnt vmcnt(17)
	v_mul_f32_e32 v2, v17, v69
	v_mul_f32_e32 v3, v16, v69
	s_waitcnt vmcnt(15)
	v_mul_f32_e32 v4, v19, v75
	v_mul_f32_e32 v5, v18, v75
	v_fmac_f32_e32 v2, v16, v68
	v_fma_f32 v3, v17, v68, -v3
	v_fmac_f32_e32 v4, v18, v74
	v_fma_f32 v5, v19, v74, -v5
	ds_write2st64_b64 v1, v[2:3], v[4:5] offset0:24 offset1:28
	s_waitcnt vmcnt(13)
	v_mul_f32_e32 v2, v21, v73
	v_mul_f32_e32 v3, v20, v73
	s_waitcnt vmcnt(11)
	v_mul_f32_e32 v4, v23, v79
	v_mul_f32_e32 v5, v22, v79
	v_fmac_f32_e32 v2, v20, v72
	;; [unrolled: 11-line block ×5, first 2 shown]
	v_fma_f32 v3, v33, v84, -v3
	v_fmac_f32_e32 v4, v34, v88
	v_fma_f32 v5, v35, v88, -v5
	ds_write2st64_b64 v1, v[2:3], v[4:5] offset0:56 offset1:60
	s_waitcnt lgkmcnt(0)
	s_barrier
	ds_read2st64_b64 v[2:5], v1 offset1:4
	ds_read2st64_b64 v[6:9], v1 offset0:8 offset1:12
	ds_read2st64_b64 v[10:13], v1 offset0:16 offset1:20
	;; [unrolled: 1-line block ×7, first 2 shown]
	s_waitcnt lgkmcnt(4)
	v_pk_add_f32 v[14:15], v[2:3], v[14:15] neg_lo:[0,1] neg_hi:[0,1]
	v_pk_add_f32 v[16:17], v[4:5], v[16:17] neg_lo:[0,1] neg_hi:[0,1]
	s_waitcnt lgkmcnt(2)
	v_pk_add_f32 v[22:23], v[10:11], v[22:23] neg_lo:[0,1] neg_hi:[0,1]
	s_waitcnt lgkmcnt(1)
	v_pk_add_f32 v[26:27], v[6:7], v[26:27] neg_lo:[0,1] neg_hi:[0,1]
	v_pk_add_f32 v[24:25], v[12:13], v[24:25] neg_lo:[0,1] neg_hi:[0,1]
	s_waitcnt lgkmcnt(0)
	v_pk_add_f32 v[30:31], v[18:19], v[30:31] neg_lo:[0,1] neg_hi:[0,1]
	v_pk_add_f32 v[28:29], v[8:9], v[28:29] neg_lo:[0,1] neg_hi:[0,1]
	;; [unrolled: 1-line block ×3, first 2 shown]
	v_pk_fma_f32 v[2:3], v[2:3], 2.0, v[14:15] op_sel_hi:[1,0,1] neg_lo:[0,0,1] neg_hi:[0,0,1]
	v_pk_fma_f32 v[10:11], v[10:11], 2.0, v[22:23] op_sel_hi:[1,0,1] neg_lo:[0,0,1] neg_hi:[0,0,1]
	;; [unrolled: 1-line block ×8, first 2 shown]
	v_pk_add_f32 v[10:11], v[2:3], v[10:11] neg_lo:[0,1] neg_hi:[0,1]
	v_pk_add_f32 v[18:19], v[6:7], v[18:19] neg_lo:[0,1] neg_hi:[0,1]
	;; [unrolled: 1-line block ×4, first 2 shown]
	v_pk_fma_f32 v[2:3], v[2:3], 2.0, v[10:11] op_sel_hi:[1,0,1] neg_lo:[0,0,1] neg_hi:[0,0,1]
	v_pk_fma_f32 v[6:7], v[6:7], 2.0, v[18:19] op_sel_hi:[1,0,1] neg_lo:[0,0,1] neg_hi:[0,0,1]
	;; [unrolled: 1-line block ×4, first 2 shown]
	v_pk_add_f32 v[34:35], v[2:3], v[6:7] neg_lo:[0,1] neg_hi:[0,1]
	v_pk_add_f32 v[36:37], v[4:5], v[8:9] neg_lo:[0,1] neg_hi:[0,1]
	v_pk_fma_f32 v[6:7], v[2:3], 2.0, v[34:35] op_sel_hi:[1,0,1] neg_lo:[0,0,1] neg_hi:[0,0,1]
	v_pk_fma_f32 v[2:3], v[4:5], 2.0, v[36:37] op_sel_hi:[1,0,1] neg_lo:[0,0,1] neg_hi:[0,0,1]
	v_pk_add_f32 v[38:39], v[14:15], v[22:23] op_sel:[0,1] op_sel_hi:[1,0] neg_lo:[0,1] neg_hi:[0,1]
	v_pk_add_f32 v[4:5], v[14:15], v[22:23] op_sel:[0,1] op_sel_hi:[1,0]
	v_pk_add_f32 v[8:9], v[26:27], v[30:31] op_sel:[0,1] op_sel_hi:[1,0]
	v_mov_b32_e32 v39, v5
	v_pk_fma_f32 v[4:5], v[14:15], 2.0, v[38:39] op_sel_hi:[1,0,1] neg_lo:[0,0,1] neg_hi:[0,0,1]
	v_pk_add_f32 v[14:15], v[26:27], v[30:31] op_sel:[0,1] op_sel_hi:[1,0] neg_lo:[0,1] neg_hi:[0,1]
	v_pk_add_f32 v[22:23], v[16:17], v[24:25] op_sel:[0,1] op_sel_hi:[1,0] neg_lo:[0,1] neg_hi:[0,1]
	v_mov_b32_e32 v15, v9
	v_pk_add_f32 v[24:25], v[16:17], v[24:25] op_sel:[0,1] op_sel_hi:[1,0]
	v_pk_fma_f32 v[8:9], v[26:27], 2.0, v[14:15] op_sel_hi:[1,0,1] neg_lo:[0,0,1] neg_hi:[0,0,1]
	v_mov_b32_e32 v23, v25
	v_pk_add_f32 v[24:25], v[28:29], v[32:33] op_sel:[0,1] op_sel_hi:[1,0] neg_lo:[0,1] neg_hi:[0,1]
	v_pk_add_f32 v[26:27], v[28:29], v[32:33] op_sel:[0,1] op_sel_hi:[1,0]
	v_pk_fma_f32 v[16:17], v[16:17], 2.0, v[22:23] op_sel_hi:[1,0,1] neg_lo:[0,0,1] neg_hi:[0,0,1]
	v_mov_b32_e32 v25, v27
	v_pk_fma_f32 v[26:27], v[28:29], 2.0, v[24:25] op_sel_hi:[1,0,1] neg_lo:[0,0,1] neg_hi:[0,0,1]
	v_pk_mul_f32 v[28:29], v[8:9], s[2:3] op_sel_hi:[1,0]
	v_pk_fma_f32 v[8:9], v[8:9], s[2:3], v[4:5] op_sel_hi:[1,0,1] neg_lo:[1,0,0] neg_hi:[1,0,0]
	v_pk_add_f32 v[2:3], v[6:7], v[2:3] neg_lo:[0,1] neg_hi:[0,1]
	v_pk_add_f32 v[30:31], v[8:9], v[28:29] op_sel:[0,1] op_sel_hi:[1,0] neg_lo:[0,1] neg_hi:[0,1]
	v_pk_add_f32 v[28:29], v[8:9], v[28:29] op_sel:[0,1] op_sel_hi:[1,0]
	v_pk_fma_f32 v[6:7], v[6:7], 2.0, v[2:3] op_sel_hi:[1,0,1] neg_lo:[0,0,1] neg_hi:[0,0,1]
	v_mov_b32_e32 v31, v29
	v_pk_fma_f32 v[8:9], v[4:5], 2.0, v[30:31] op_sel_hi:[1,0,1] neg_lo:[0,0,1] neg_hi:[0,0,1]
	v_pk_mul_f32 v[4:5], v[26:27], s[2:3] op_sel_hi:[1,0]
	v_pk_fma_f32 v[26:27], v[26:27], s[2:3], v[16:17] op_sel_hi:[1,0,1] neg_lo:[1,0,0] neg_hi:[1,0,0]
	s_nop 0
	v_pk_add_f32 v[32:33], v[26:27], v[4:5] op_sel:[0,1] op_sel_hi:[1,0] neg_lo:[0,1] neg_hi:[0,1]
	v_pk_add_f32 v[26:27], v[26:27], v[4:5] op_sel:[0,1] op_sel_hi:[1,0]
	s_barrier
	v_mov_b32_e32 v33, v27
	v_pk_fma_f32 v[4:5], v[16:17], 2.0, v[32:33] op_sel_hi:[1,0,1] neg_lo:[0,0,1] neg_hi:[0,0,1]
	s_nop 0
	v_pk_fma_f32 v[16:17], v[4:5], s[8:9], v[8:9] op_sel_hi:[1,0,1] neg_lo:[1,0,0] neg_hi:[1,0,0]
	v_pk_mul_f32 v[40:41], v[4:5], s[12:13] op_sel_hi:[1,0]
	v_pk_add_f32 v[46:47], v[10:11], v[18:19] op_sel:[0,1] op_sel_hi:[1,0] neg_lo:[0,1] neg_hi:[0,1]
	v_pk_add_f32 v[4:5], v[16:17], v[40:41] op_sel:[0,1] op_sel_hi:[1,0] neg_lo:[0,1] neg_hi:[0,1]
	v_pk_add_f32 v[16:17], v[16:17], v[40:41] op_sel:[0,1] op_sel_hi:[1,0]
	v_pk_add_f32 v[18:19], v[10:11], v[18:19] op_sel:[0,1] op_sel_hi:[1,0]
	v_mov_b32_e32 v5, v17
	v_pk_fma_f32 v[8:9], v[8:9], 2.0, v[4:5] op_sel_hi:[1,0,1] neg_lo:[0,0,1] neg_hi:[0,0,1]
	ds_write_b128 v91, v[6:9]
	v_pk_mul_f32 v[6:7], v[14:15], s[2:3] op_sel_hi:[1,0]
	v_pk_fma_f32 v[8:9], v[14:15], s[2:3], v[38:39] op_sel_hi:[1,0,1]
	v_pk_add_f32 v[48:49], v[12:13], v[20:21] op_sel:[0,1] op_sel_hi:[1,0] neg_lo:[0,1] neg_hi:[0,1]
	v_pk_add_f32 v[20:21], v[12:13], v[20:21] op_sel:[0,1] op_sel_hi:[1,0]
	v_pk_add_f32 v[40:41], v[8:9], v[6:7] op_sel:[0,1] op_sel_hi:[1,0] neg_lo:[0,1] neg_hi:[0,1]
	v_pk_add_f32 v[42:43], v[8:9], v[6:7] op_sel:[0,1] op_sel_hi:[1,0]
	v_pk_mul_f32 v[6:7], v[24:25], s[2:3] op_sel_hi:[1,0]
	v_pk_fma_f32 v[8:9], v[24:25], s[2:3], v[22:23] op_sel_hi:[1,0,1]
	v_mov_b32_e32 v47, v19
	v_mov_b32_e32 v49, v21
	v_pk_add_f32 v[24:25], v[8:9], v[6:7] op_sel:[0,1] op_sel_hi:[1,0] neg_lo:[0,1] neg_hi:[0,1]
	v_pk_add_f32 v[44:45], v[8:9], v[6:7] op_sel:[0,1] op_sel_hi:[1,0]
	v_pk_fma_f32 v[10:11], v[10:11], 2.0, v[46:47] op_sel_hi:[1,0,1] neg_lo:[0,0,1] neg_hi:[0,0,1]
	v_pk_fma_f32 v[6:7], v[12:13], 2.0, v[48:49] op_sel_hi:[1,0,1] neg_lo:[0,0,1] neg_hi:[0,0,1]
	v_mov_b32_e32 v41, v43
	v_pk_mul_f32 v[8:9], v[6:7], s[2:3] op_sel_hi:[1,0]
	v_pk_fma_f32 v[6:7], v[6:7], s[2:3], v[10:11] op_sel_hi:[1,0,1] neg_lo:[1,0,0] neg_hi:[1,0,0]
	v_mov_b32_e32 v25, v45
	v_pk_add_f32 v[50:51], v[6:7], v[8:9] op_sel:[0,1] op_sel_hi:[1,0]
	v_pk_add_f32 v[6:7], v[6:7], v[8:9] op_sel:[0,1] op_sel_hi:[1,0] neg_lo:[0,1] neg_hi:[0,1]
	v_pk_fma_f32 v[12:13], v[38:39], 2.0, v[40:41] op_sel_hi:[1,0,1] neg_lo:[0,0,1] neg_hi:[0,0,1]
	v_pk_fma_f32 v[8:9], v[22:23], 2.0, v[24:25] op_sel_hi:[1,0,1] neg_lo:[0,0,1] neg_hi:[0,0,1]
	v_mov_b32_e32 v7, v51
	v_pk_fma_f32 v[14:15], v[8:9], s[12:13], v[12:13] op_sel_hi:[1,0,1] neg_lo:[1,0,0] neg_hi:[1,0,0]
	v_pk_mul_f32 v[22:23], v[8:9], s[8:9] op_sel_hi:[1,0]
	v_pk_fma_f32 v[10:11], v[10:11], 2.0, v[6:7] op_sel_hi:[1,0,1] neg_lo:[0,0,1] neg_hi:[0,0,1]
	v_pk_add_f32 v[8:9], v[14:15], v[22:23] op_sel:[0,1] op_sel_hi:[1,0] neg_lo:[0,1] neg_hi:[0,1]
	v_pk_add_f32 v[22:23], v[14:15], v[22:23] op_sel:[0,1] op_sel_hi:[1,0]
	v_mov_b32_e32 v25, v48
	v_mov_b32_e32 v9, v23
	v_pk_fma_f32 v[12:13], v[12:13], 2.0, v[8:9] op_sel_hi:[1,0,1] neg_lo:[0,0,1] neg_hi:[0,0,1]
	ds_write_b128 v91, v[10:13] offset:16
	v_fmamk_f32 v12, v32, 0x3ec3ef15, v30
	v_pk_add_f32 v[10:11], v[34:35], v[36:37] op_sel:[0,1] op_sel_hi:[1,0] neg_lo:[0,1] neg_hi:[0,1]
	v_pk_add_f32 v[36:37], v[34:35], v[36:37] op_sel:[0,1] op_sel_hi:[1,0]
	v_fmac_f32_e32 v12, 0xbf6c835e, v27
	v_mov_b32_e32 v11, v37
	v_fma_f32 v16, v30, 2.0, -v12
	v_pk_fma_f32 v[14:15], v[34:35], 2.0, v[10:11] op_sel_hi:[1,0,1] neg_lo:[0,0,1] neg_hi:[0,0,1]
	v_fmamk_f32 v13, v45, 0x3f6c835e, v43
	ds_write_b96 v91, v[14:16] offset:32
	v_fmamk_f32 v15, v24, 0x3f6c835e, v40
	v_fmac_f32_e32 v13, 0x3ec3ef15, v24
	v_mov_b32_e32 v24, v27
	s_mov_b32 s13, s2
	s_mov_b32 s9, s2
	v_mov_b32_e32 v28, v29
	v_mov_b32_e32 v29, v46
	v_pk_mul_f32 v[26:27], v[24:25], s[12:13]
	v_mov_b32_e32 v33, v21
	v_pk_mul_f32 v[20:21], v[20:21], s[8:9]
	v_pk_fma_f32 v[24:25], v[24:25], s[12:13], v[28:29]
	v_add_f32_e32 v5, v19, v21
	v_pk_fma_f32 v[30:31], v[32:33], s[8:9], v[24:25]
	v_pk_fma_f32 v[24:25], v[32:33], s[8:9], v[24:25] neg_lo:[1,0,0] neg_hi:[1,0,0]
	v_fmac_f32_e32 v15, 0xbec3ef15, v45
	v_mov_b32_e32 v31, v25
	v_add_f32_e32 v14, v5, v27
	v_mov_b32_e32 v18, v19
	v_mov_b32_e32 v19, v40
	v_pk_fma_f32 v[20:21], v[28:29], 2.0, v[30:31] op_sel_hi:[1,0,1] neg_lo:[0,0,1] neg_hi:[0,0,1]
	v_pk_fma_f32 v[18:19], v[18:19], 2.0, v[14:15] op_sel_hi:[1,0,1] neg_lo:[0,0,1] neg_hi:[0,0,1]
	v_mov_b32_e32 v5, v17
	v_fma_f32 v16, v43, 2.0, -v13
	ds_write2_b32 v91, v20, v21 offset0:11 offset1:12
	ds_write2_b32 v91, v18, v19 offset0:13 offset1:14
	ds_write_b128 v91, v[2:5] offset:64
	ds_write_b128 v91, v[6:9] offset:80
	ds_write_b96 v91, v[10:12] offset:96
	ds_write2_b32 v91, v30, v25 offset0:27 offset1:28
	ds_write2_b32 v91, v14, v15 offset0:29 offset1:30
	;; [unrolled: 1-line block ×3, first 2 shown]
	v_and_b32_e32 v2, 15, v0
	s_movk_i32 s3, 0x78
	v_mov_b64_e32 v[30:31], s[10:11]
	v_mad_u64_u32 v[32:33], s[10:11], v2, s3, v[30:31]
	s_waitcnt lgkmcnt(0)
	s_barrier
	global_load_dwordx4 v[2:5], v[32:33], off
	global_load_dwordx4 v[6:9], v[32:33], off offset:16
	global_load_dwordx4 v[10:13], v[32:33], off offset:32
	;; [unrolled: 1-line block ×6, first 2 shown]
	global_load_dwordx2 v[100:101], v[32:33], off offset:112
	ds_read2st64_b64 v[32:35], v1 offset0:8 offset1:12
	ds_read2st64_b64 v[36:39], v1 offset0:16 offset1:20
	s_movk_i32 s10, 0xf0f
	s_waitcnt vmcnt(7)
	v_mov_b32_e32 v92, v5
	s_waitcnt lgkmcnt(1)
	v_pk_mul_f32 v[40:41], v[32:33], v[92:93] op_sel_hi:[1,0]
	s_waitcnt vmcnt(6)
	v_mov_b32_e32 v94, v9
	v_pk_fma_f32 v[42:43], v[32:33], v[4:5], v[40:41] op_sel:[0,0,1] op_sel_hi:[1,1,0] neg_lo:[0,0,1] neg_hi:[0,0,1]
	v_pk_fma_f32 v[40:41], v[32:33], v[4:5], v[40:41] op_sel:[0,0,1] op_sel_hi:[1,0,0]
	v_pk_mul_f32 v[32:33], v[34:35], v[6:7] op_sel:[0,1]
	s_waitcnt vmcnt(5)
	v_mov_b32_e32 v96, v13
	v_pk_fma_f32 v[44:45], v[34:35], v[6:7], v[32:33] op_sel:[0,0,1] op_sel_hi:[1,1,0] neg_lo:[0,0,1] neg_hi:[0,0,1]
	v_pk_fma_f32 v[46:47], v[34:35], v[6:7], v[32:33] op_sel:[0,0,1] op_sel_hi:[1,0,0]
	s_waitcnt lgkmcnt(0)
	v_pk_mul_f32 v[32:33], v[36:37], v[94:95] op_sel_hi:[1,0]
	s_waitcnt vmcnt(4)
	v_mov_b32_e32 v98, v17
	v_pk_fma_f32 v[48:49], v[36:37], v[8:9], v[32:33] op_sel:[0,0,1] op_sel_hi:[1,1,0] neg_lo:[0,0,1] neg_hi:[0,0,1]
	v_pk_fma_f32 v[50:51], v[36:37], v[8:9], v[32:33] op_sel:[0,0,1] op_sel_hi:[1,0,0]
	ds_read2st64_b64 v[32:35], v1 offset0:24 offset1:28
	v_pk_mul_f32 v[36:37], v[38:39], v[10:11] op_sel:[0,1]
	s_waitcnt vmcnt(3)
	v_mov_b32_e32 v102, v21
	v_pk_fma_f32 v[52:53], v[38:39], v[10:11], v[36:37] op_sel:[0,0,1] op_sel_hi:[1,1,0] neg_lo:[0,0,1] neg_hi:[0,0,1]
	v_pk_fma_f32 v[54:55], v[38:39], v[10:11], v[36:37] op_sel:[0,0,1] op_sel_hi:[1,0,0]
	s_waitcnt lgkmcnt(0)
	v_pk_mul_f32 v[36:37], v[32:33], v[96:97] op_sel_hi:[1,0]
	s_waitcnt vmcnt(2)
	v_mov_b32_e32 v104, v25
	v_pk_fma_f32 v[56:57], v[32:33], v[12:13], v[36:37] op_sel:[0,0,1] op_sel_hi:[1,1,0] neg_lo:[0,0,1] neg_hi:[0,0,1]
	v_pk_fma_f32 v[108:109], v[32:33], v[12:13], v[36:37] op_sel:[0,0,1] op_sel_hi:[1,0,0]
	ds_read2st64_b64 v[36:39], v1 offset0:32 offset1:36
	v_pk_mul_f32 v[32:33], v[34:35], v[14:15] op_sel:[0,1]
	s_waitcnt vmcnt(1)
	v_mov_b32_e32 v106, v29
	v_pk_fma_f32 v[126:127], v[34:35], v[14:15], v[32:33] op_sel:[0,0,1] op_sel_hi:[1,1,0] neg_lo:[0,0,1] neg_hi:[0,0,1]
	v_pk_fma_f32 v[128:129], v[34:35], v[14:15], v[32:33] op_sel:[0,0,1] op_sel_hi:[1,0,0]
	s_waitcnt lgkmcnt(0)
	v_pk_mul_f32 v[32:33], v[36:37], v[98:99] op_sel_hi:[1,0]
	v_mov_b32_e32 v49, v51
	v_pk_fma_f32 v[130:131], v[36:37], v[16:17], v[32:33] op_sel:[0,0,1] op_sel_hi:[1,1,0] neg_lo:[0,0,1] neg_hi:[0,0,1]
	v_pk_fma_f32 v[132:133], v[36:37], v[16:17], v[32:33] op_sel:[0,0,1] op_sel_hi:[1,0,0]
	ds_read2st64_b64 v[32:35], v1 offset0:40 offset1:44
	v_pk_mul_f32 v[36:37], v[38:39], v[18:19] op_sel:[0,1]
	v_mov_b32_e32 v131, v133
	v_pk_fma_f32 v[134:135], v[38:39], v[18:19], v[36:37] op_sel:[0,0,1] op_sel_hi:[1,1,0] neg_lo:[0,0,1] neg_hi:[0,0,1]
	v_pk_fma_f32 v[136:137], v[38:39], v[18:19], v[36:37] op_sel:[0,0,1] op_sel_hi:[1,0,0]
	s_waitcnt lgkmcnt(0)
	v_pk_mul_f32 v[36:37], v[32:33], v[102:103] op_sel_hi:[1,0]
	v_mov_b32_e32 v43, v41
	v_pk_fma_f32 v[138:139], v[32:33], v[20:21], v[36:37] op_sel:[0,0,1] op_sel_hi:[1,1,0] neg_lo:[0,0,1] neg_hi:[0,0,1]
	v_pk_fma_f32 v[140:141], v[32:33], v[20:21], v[36:37] op_sel:[0,0,1] op_sel_hi:[1,0,0]
	ds_read2st64_b64 v[36:39], v1 offset0:48 offset1:52
	v_pk_mul_f32 v[32:33], v[34:35], v[22:23] op_sel:[0,1]
	v_mov_b32_e32 v57, v109
	v_pk_fma_f32 v[142:143], v[34:35], v[22:23], v[32:33] op_sel:[0,0,1] op_sel_hi:[1,1,0] neg_lo:[0,0,1] neg_hi:[0,0,1]
	v_pk_fma_f32 v[144:145], v[34:35], v[22:23], v[32:33] op_sel:[0,0,1] op_sel_hi:[1,0,0]
	s_waitcnt lgkmcnt(0)
	v_pk_mul_f32 v[32:33], v[36:37], v[104:105] op_sel_hi:[1,0]
	v_mov_b32_e32 v139, v141
	v_pk_fma_f32 v[146:147], v[36:37], v[24:25], v[32:33] op_sel:[0,0,1] op_sel_hi:[1,1,0] neg_lo:[0,0,1] neg_hi:[0,0,1]
	v_pk_fma_f32 v[148:149], v[36:37], v[24:25], v[32:33] op_sel:[0,0,1] op_sel_hi:[1,0,0]
	ds_read2st64_b64 v[32:35], v1 offset0:56 offset1:60
	v_pk_mul_f32 v[36:37], v[38:39], v[26:27] op_sel:[0,1]
	v_mov_b32_e32 v147, v149
	v_pk_fma_f32 v[150:151], v[38:39], v[26:27], v[36:37] op_sel:[0,0,1] op_sel_hi:[1,1,0] neg_lo:[0,0,1] neg_hi:[0,0,1]
	v_pk_fma_f32 v[152:153], v[38:39], v[26:27], v[36:37] op_sel:[0,0,1] op_sel_hi:[1,0,0]
	ds_read2st64_b64 v[36:39], v1 offset1:4
	s_waitcnt lgkmcnt(1)
	v_pk_mul_f32 v[154:155], v[32:33], v[106:107] op_sel_hi:[1,0]
	v_mov_b32_e32 v45, v47
	v_pk_fma_f32 v[156:157], v[32:33], v[28:29], v[154:155] op_sel:[0,0,1] op_sel_hi:[1,1,0] neg_lo:[0,0,1] neg_hi:[0,0,1]
	v_pk_fma_f32 v[32:33], v[32:33], v[28:29], v[154:155] op_sel:[0,0,1] op_sel_hi:[1,0,0]
	s_waitcnt vmcnt(0)
	v_pk_mul_f32 v[154:155], v[34:35], v[100:101] op_sel:[0,1]
	v_mov_b32_e32 v157, v33
	v_pk_fma_f32 v[158:159], v[34:35], v[100:101], v[154:155] op_sel:[0,0,1] op_sel_hi:[1,1,0] neg_lo:[0,0,1] neg_hi:[0,0,1]
	v_pk_fma_f32 v[34:35], v[34:35], v[100:101], v[154:155] op_sel:[0,0,1] op_sel_hi:[1,0,0]
	s_waitcnt lgkmcnt(0)
	v_pk_mul_f32 v[154:155], v[38:39], v[2:3] op_sel:[0,1]
	v_pk_add_f32 v[32:33], v[36:37], v[130:131] neg_lo:[0,1] neg_hi:[0,1]
	v_pk_fma_f32 v[160:161], v[38:39], v[2:3], v[154:155] op_sel:[0,0,1] op_sel_hi:[1,1,0] neg_lo:[0,0,1] neg_hi:[0,0,1]
	v_pk_fma_f32 v[38:39], v[38:39], v[2:3], v[154:155] op_sel:[0,0,1] op_sel_hi:[1,0,0]
	v_mov_b32_e32 v159, v35
	v_pk_fma_f32 v[34:35], v[36:37], 2.0, v[32:33] op_sel_hi:[1,0,1] neg_lo:[0,0,1] neg_hi:[0,0,1]
	v_pk_add_f32 v[36:37], v[48:49], v[146:147] neg_lo:[0,1] neg_hi:[0,1]
	v_mov_b32_e32 v161, v39
	v_pk_fma_f32 v[38:39], v[48:49], 2.0, v[36:37] op_sel_hi:[1,0,1] neg_lo:[0,0,1] neg_hi:[0,0,1]
	v_pk_add_f32 v[40:41], v[32:33], v[36:37] op_sel:[0,1] op_sel_hi:[1,0] neg_lo:[0,1] neg_hi:[0,1]
	v_pk_add_f32 v[36:37], v[32:33], v[36:37] op_sel:[0,1] op_sel_hi:[1,0]
	v_pk_add_f32 v[46:47], v[56:57], v[156:157] neg_lo:[0,1] neg_hi:[0,1]
	v_mov_b32_e32 v41, v37
	v_pk_add_f32 v[36:37], v[42:43], v[138:139] neg_lo:[0,1] neg_hi:[0,1]
	v_mov_b32_e32 v53, v55
	v_mov_b32_e32 v135, v137
	;; [unrolled: 1-line block ×3, first 2 shown]
	v_pk_fma_f32 v[48:49], v[56:57], 2.0, v[46:47] op_sel_hi:[1,0,1] neg_lo:[0,0,1] neg_hi:[0,0,1]
	v_pk_add_f32 v[50:51], v[36:37], v[46:47] op_sel:[0,1] op_sel_hi:[1,0] neg_lo:[0,1] neg_hi:[0,1]
	v_pk_add_f32 v[46:47], v[36:37], v[46:47] op_sel:[0,1] op_sel_hi:[1,0]
	v_pk_add_f32 v[54:55], v[52:53], v[150:151] neg_lo:[0,1] neg_hi:[0,1]
	v_mov_b32_e32 v51, v47
	v_pk_add_f32 v[46:47], v[160:161], v[134:135] neg_lo:[0,1] neg_hi:[0,1]
	v_mov_b32_e32 v127, v129
	v_mov_b32_e32 v143, v145
	v_pk_fma_f32 v[52:53], v[52:53], 2.0, v[54:55] op_sel_hi:[1,0,1] neg_lo:[0,0,1] neg_hi:[0,0,1]
	v_pk_add_f32 v[56:57], v[46:47], v[54:55] op_sel:[0,1] op_sel_hi:[1,0] neg_lo:[0,1] neg_hi:[0,1]
	v_pk_add_f32 v[54:55], v[46:47], v[54:55] op_sel:[0,1] op_sel_hi:[1,0]
	v_pk_add_f32 v[108:109], v[126:127], v[158:159] neg_lo:[0,1] neg_hi:[0,1]
	v_mov_b32_e32 v57, v55
	v_pk_add_f32 v[54:55], v[44:45], v[142:143] neg_lo:[0,1] neg_hi:[0,1]
	v_pk_fma_f32 v[126:127], v[126:127], 2.0, v[108:109] op_sel_hi:[1,0,1] neg_lo:[0,0,1] neg_hi:[0,0,1]
	v_pk_add_f32 v[128:129], v[54:55], v[108:109] op_sel:[0,1] op_sel_hi:[1,0] neg_lo:[0,1] neg_hi:[0,1]
	v_pk_add_f32 v[108:109], v[54:55], v[108:109] op_sel:[0,1] op_sel_hi:[1,0]
	v_pk_fma_f32 v[42:43], v[42:43], 2.0, v[36:37] op_sel_hi:[1,0,1] neg_lo:[0,0,1] neg_hi:[0,0,1]
	v_pk_fma_f32 v[32:33], v[32:33], 2.0, v[40:41] op_sel_hi:[1,0,1] neg_lo:[0,0,1] neg_hi:[0,0,1]
	;; [unrolled: 1-line block ×3, first 2 shown]
	v_mov_b32_e32 v129, v109
	v_pk_mul_f32 v[108:109], v[36:37], s[2:3] op_sel_hi:[1,0]
	v_pk_fma_f32 v[36:37], v[36:37], s[2:3], v[32:33] op_sel_hi:[1,0,1] neg_lo:[1,0,0] neg_hi:[1,0,0]
	v_pk_fma_f32 v[44:45], v[44:45], 2.0, v[54:55] op_sel_hi:[1,0,1] neg_lo:[0,0,1] neg_hi:[0,0,1]
	v_pk_add_f32 v[130:131], v[36:37], v[108:109] op_sel:[0,1] op_sel_hi:[1,0] neg_lo:[0,1] neg_hi:[0,1]
	v_pk_add_f32 v[36:37], v[36:37], v[108:109] op_sel:[0,1] op_sel_hi:[1,0]
	v_pk_fma_f32 v[108:109], v[160:161], 2.0, v[46:47] op_sel_hi:[1,0,1] neg_lo:[0,0,1] neg_hi:[0,0,1]
	v_pk_fma_f32 v[46:47], v[46:47], 2.0, v[56:57] op_sel_hi:[1,0,1] neg_lo:[0,0,1] neg_hi:[0,0,1]
	;; [unrolled: 1-line block ×3, first 2 shown]
	v_mov_b32_e32 v131, v37
	v_pk_mul_f32 v[132:133], v[54:55], s[2:3] op_sel_hi:[1,0]
	v_pk_fma_f32 v[54:55], v[54:55], s[2:3], v[46:47] op_sel_hi:[1,0,1] neg_lo:[1,0,0] neg_hi:[1,0,0]
	v_pk_fma_f32 v[32:33], v[32:33], 2.0, v[130:131] op_sel_hi:[1,0,1] neg_lo:[0,0,1] neg_hi:[0,0,1]
	v_pk_add_f32 v[134:135], v[54:55], v[132:133] op_sel:[0,1] op_sel_hi:[1,0] neg_lo:[0,1] neg_hi:[0,1]
	v_pk_add_f32 v[54:55], v[54:55], v[132:133] op_sel:[0,1] op_sel_hi:[1,0]
	v_pk_add_f32 v[38:39], v[34:35], v[38:39] neg_lo:[0,1] neg_hi:[0,1]
	v_mov_b32_e32 v135, v55
	v_pk_fma_f32 v[46:47], v[46:47], 2.0, v[134:135] op_sel_hi:[1,0,1] neg_lo:[0,0,1] neg_hi:[0,0,1]
	v_pk_fma_f32 v[34:35], v[34:35], 2.0, v[38:39] op_sel_hi:[1,0,1] neg_lo:[0,0,1] neg_hi:[0,0,1]
	v_pk_fma_f32 v[132:133], v[46:47], s[8:9], v[32:33] op_sel_hi:[1,0,1] neg_lo:[1,0,0] neg_hi:[1,0,0]
	v_pk_mul_f32 v[46:47], v[46:47], s[12:13] op_sel_hi:[1,0]
	v_lshlrev_b32_e32 v36, 4, v0
	v_pk_add_f32 v[136:137], v[132:133], v[46:47] op_sel:[0,1] op_sel_hi:[1,0] neg_lo:[0,1] neg_hi:[0,1]
	v_pk_add_f32 v[46:47], v[132:133], v[46:47] op_sel:[0,1] op_sel_hi:[1,0]
	v_bitop3_b32 v36, v36, s10, v0 bitop3:0xc8
	v_mov_b32_e32 v137, v47
	v_pk_add_f32 v[46:47], v[42:43], v[48:49] neg_lo:[0,1] neg_hi:[0,1]
	v_pk_add_f32 v[48:49], v[108:109], v[52:53] neg_lo:[0,1] neg_hi:[0,1]
	v_pk_fma_f32 v[42:43], v[42:43], 2.0, v[46:47] op_sel_hi:[1,0,1] neg_lo:[0,0,1] neg_hi:[0,0,1]
	v_pk_fma_f32 v[52:53], v[108:109], 2.0, v[48:49] op_sel_hi:[1,0,1] neg_lo:[0,0,1] neg_hi:[0,0,1]
	v_pk_add_f32 v[108:109], v[44:45], v[126:127] neg_lo:[0,1] neg_hi:[0,1]
	v_pk_add_f32 v[42:43], v[34:35], v[42:43] neg_lo:[0,1] neg_hi:[0,1]
	v_pk_fma_f32 v[44:45], v[44:45], 2.0, v[108:109] op_sel_hi:[1,0,1] neg_lo:[0,0,1] neg_hi:[0,0,1]
	v_pk_fma_f32 v[34:35], v[34:35], 2.0, v[42:43] op_sel_hi:[1,0,1] neg_lo:[0,0,1] neg_hi:[0,0,1]
	v_pk_add_f32 v[44:45], v[52:53], v[44:45] neg_lo:[0,1] neg_hi:[0,1]
	v_lshlrev_b32_e32 v93, 3, v36
	v_pk_fma_f32 v[52:53], v[52:53], 2.0, v[44:45] op_sel_hi:[1,0,1] neg_lo:[0,0,1] neg_hi:[0,0,1]
	v_pk_fma_f32 v[32:33], v[32:33], 2.0, v[136:137] op_sel_hi:[1,0,1] neg_lo:[0,0,1] neg_hi:[0,0,1]
	v_pk_add_f32 v[52:53], v[34:35], v[52:53] neg_lo:[0,1] neg_hi:[0,1]
	s_nop 0
	v_pk_fma_f32 v[34:35], v[34:35], 2.0, v[52:53] op_sel_hi:[1,0,1] neg_lo:[0,0,1] neg_hi:[0,0,1]
	s_barrier
	ds_write2_b64 v93, v[34:35], v[32:33] offset1:16
	v_pk_add_f32 v[32:33], v[38:39], v[46:47] op_sel:[0,1] op_sel_hi:[1,0] neg_lo:[0,1] neg_hi:[0,1]
	v_pk_add_f32 v[34:35], v[38:39], v[46:47] op_sel:[0,1] op_sel_hi:[1,0]
	v_pk_add_f32 v[46:47], v[48:49], v[108:109] op_sel:[0,1] op_sel_hi:[1,0]
	v_mov_b32_e32 v33, v35
	v_pk_add_f32 v[34:35], v[48:49], v[108:109] op_sel:[0,1] op_sel_hi:[1,0] neg_lo:[0,1] neg_hi:[0,1]
	v_pk_fma_f32 v[38:39], v[38:39], 2.0, v[32:33] op_sel_hi:[1,0,1] neg_lo:[0,0,1] neg_hi:[0,0,1]
	v_mov_b32_e32 v35, v47
	v_pk_fma_f32 v[46:47], v[48:49], 2.0, v[34:35] op_sel_hi:[1,0,1] neg_lo:[0,0,1] neg_hi:[0,0,1]
	v_pk_fma_f32 v[126:127], v[128:129], s[2:3], v[56:57] op_sel_hi:[1,0,1]
	v_pk_mul_f32 v[48:49], v[46:47], s[2:3] op_sel_hi:[1,0]
	v_pk_fma_f32 v[46:47], v[46:47], s[2:3], v[38:39] op_sel_hi:[1,0,1] neg_lo:[1,0,0] neg_hi:[1,0,0]
	s_nop 0
	v_pk_add_f32 v[108:109], v[46:47], v[48:49] op_sel:[0,1] op_sel_hi:[1,0] neg_lo:[0,1] neg_hi:[0,1]
	v_pk_add_f32 v[46:47], v[46:47], v[48:49] op_sel:[0,1] op_sel_hi:[1,0]
	v_pk_fma_f32 v[48:49], v[50:51], s[2:3], v[40:41] op_sel_hi:[1,0,1]
	v_mov_b32_e32 v109, v47
	v_pk_mul_f32 v[46:47], v[50:51], s[2:3] op_sel_hi:[1,0]
	v_pk_fma_f32 v[38:39], v[38:39], 2.0, v[108:109] op_sel_hi:[1,0,1] neg_lo:[0,0,1] neg_hi:[0,0,1]
	v_pk_add_f32 v[50:51], v[48:49], v[46:47] op_sel:[0,1] op_sel_hi:[1,0] neg_lo:[0,1] neg_hi:[0,1]
	v_pk_add_f32 v[46:47], v[48:49], v[46:47] op_sel:[0,1] op_sel_hi:[1,0]
	v_pk_mul_f32 v[48:49], v[128:129], s[2:3] op_sel_hi:[1,0]
	v_mov_b32_e32 v51, v47
	v_pk_add_f32 v[128:129], v[126:127], v[48:49] op_sel:[0,1] op_sel_hi:[1,0] neg_lo:[0,1] neg_hi:[0,1]
	v_pk_add_f32 v[48:49], v[126:127], v[48:49] op_sel:[0,1] op_sel_hi:[1,0]
	v_pk_fma_f32 v[40:41], v[40:41], 2.0, v[50:51] op_sel_hi:[1,0,1] neg_lo:[0,0,1] neg_hi:[0,0,1]
	v_mov_b32_e32 v129, v49
	v_pk_fma_f32 v[56:57], v[56:57], 2.0, v[128:129] op_sel_hi:[1,0,1] neg_lo:[0,0,1] neg_hi:[0,0,1]
	s_nop 0
	v_pk_fma_f32 v[126:127], v[56:57], s[12:13], v[40:41] op_sel_hi:[1,0,1] neg_lo:[1,0,0] neg_hi:[1,0,0]
	v_pk_mul_f32 v[56:57], v[56:57], s[8:9] op_sel_hi:[1,0]
	s_nop 0
	v_pk_add_f32 v[132:133], v[126:127], v[56:57] op_sel:[0,1] op_sel_hi:[1,0] neg_lo:[0,1] neg_hi:[0,1]
	v_pk_add_f32 v[56:57], v[126:127], v[56:57] op_sel:[0,1] op_sel_hi:[1,0]
	s_nop 0
	v_mov_b32_e32 v133, v57
	v_pk_fma_f32 v[40:41], v[40:41], 2.0, v[132:133] op_sel_hi:[1,0,1] neg_lo:[0,0,1] neg_hi:[0,0,1]
	ds_write2_b64 v93, v[38:39], v[40:41] offset0:32 offset1:48
	v_fmamk_f32 v38, v134, 0x3ec3ef15, v130
	v_fmamk_f32 v39, v55, 0x3ec3ef15, v37
	v_pk_add_f32 v[40:41], v[42:43], v[44:45] op_sel:[0,1] op_sel_hi:[1,0] neg_lo:[0,1] neg_hi:[0,1]
	v_pk_add_f32 v[44:45], v[42:43], v[44:45] op_sel:[0,1] op_sel_hi:[1,0]
	v_fmac_f32_e32 v38, 0xbf6c835e, v55
	v_fmac_f32_e32 v39, 0x3f6c835e, v134
	v_mov_b32_e32 v41, v45
	v_fma_f32 v36, v130, 2.0, -v38
	v_fma_f32 v37, v37, 2.0, -v39
	v_pk_fma_f32 v[42:43], v[42:43], 2.0, v[40:41] op_sel_hi:[1,0,1] neg_lo:[0,0,1] neg_hi:[0,0,1]
	ds_write2_b64 v93, v[42:43], v[36:37] offset0:64 offset1:80
	v_fmamk_f32 v37, v49, 0x3f6c835e, v47
	v_fmac_f32_e32 v37, 0x3ec3ef15, v128
	v_pk_mul_f32 v[44:45], v[34:35], s[2:3] op_sel_hi:[1,0]
	v_pk_fma_f32 v[34:35], v[34:35], s[2:3], v[32:33] op_sel_hi:[1,0,1]
	v_fmamk_f32 v36, v128, 0x3f6c835e, v50
	v_fma_f32 v43, v47, 2.0, -v37
	v_pk_add_f32 v[46:47], v[34:35], v[44:45] op_sel:[0,1] op_sel_hi:[1,0] neg_lo:[0,1] neg_hi:[0,1]
	v_pk_add_f32 v[34:35], v[34:35], v[44:45] op_sel:[0,1] op_sel_hi:[1,0]
	v_fmac_f32_e32 v36, 0xbec3ef15, v49
	v_mov_b32_e32 v47, v35
	v_fma_f32 v42, v50, 2.0, -v36
	v_pk_fma_f32 v[32:33], v[32:33], 2.0, v[46:47] op_sel_hi:[1,0,1] neg_lo:[0,0,1] neg_hi:[0,0,1]
	v_mad_u64_u32 v[130:131], s[10:11], v0, s3, v[30:31]
	ds_write2_b64 v93, v[32:33], v[42:43] offset0:96 offset1:112
	ds_write2_b64 v93, v[52:53], v[136:137] offset0:128 offset1:144
	;; [unrolled: 1-line block ×5, first 2 shown]
	s_waitcnt lgkmcnt(0)
	s_barrier
	global_load_dwordx4 v[30:33], v[130:131], off offset:1920
	global_load_dwordx4 v[34:37], v[130:131], off offset:1936
	;; [unrolled: 1-line block ×6, first 2 shown]
	ds_read2st64_b64 v[54:57], v1 offset0:8 offset1:12
	ds_read2st64_b64 v[126:129], v1 offset0:16 offset1:20
	s_waitcnt vmcnt(5)
	v_mov_b32_e32 v122, v33
	s_waitcnt lgkmcnt(1)
	v_pk_mul_f32 v[108:109], v[54:55], v[122:123] op_sel_hi:[1,0]
	s_waitcnt vmcnt(4)
	v_mov_b32_e32 v120, v37
	v_pk_fma_f32 v[132:133], v[54:55], v[32:33], v[108:109] op_sel:[0,0,1] op_sel_hi:[1,1,0] neg_lo:[0,0,1] neg_hi:[0,0,1]
	v_pk_fma_f32 v[134:135], v[54:55], v[32:33], v[108:109] op_sel:[0,0,1] op_sel_hi:[1,0,0]
	v_pk_mul_f32 v[54:55], v[56:57], v[34:35] op_sel:[0,1]
	s_waitcnt vmcnt(3) lgkmcnt(0)
	v_pk_mul_f32 v[108:109], v[128:129], v[38:39] op_sel:[0,1]
	v_pk_fma_f32 v[136:137], v[56:57], v[34:35], v[54:55] op_sel:[0,0,1] op_sel_hi:[1,1,0] neg_lo:[0,0,1] neg_hi:[0,0,1]
	v_pk_fma_f32 v[138:139], v[56:57], v[34:35], v[54:55] op_sel:[0,0,1] op_sel_hi:[1,0,0]
	v_pk_mul_f32 v[54:55], v[126:127], v[120:121] op_sel_hi:[1,0]
	v_pk_fma_f32 v[144:145], v[128:129], v[38:39], v[108:109] op_sel:[0,0,1] op_sel_hi:[1,1,0] neg_lo:[0,0,1] neg_hi:[0,0,1]
	v_pk_fma_f32 v[140:141], v[126:127], v[36:37], v[54:55] op_sel:[0,0,1] op_sel_hi:[1,1,0] neg_lo:[0,0,1] neg_hi:[0,0,1]
	v_pk_fma_f32 v[142:143], v[126:127], v[36:37], v[54:55] op_sel:[0,0,1] op_sel_hi:[1,0,0]
	ds_read2st64_b64 v[54:57], v1 offset0:24 offset1:28
	v_pk_fma_f32 v[146:147], v[128:129], v[38:39], v[108:109] op_sel:[0,0,1] op_sel_hi:[1,0,0]
	ds_read2st64_b64 v[126:129], v1 offset0:32 offset1:36
	v_mov_b32_e32 v116, v41
	s_waitcnt vmcnt(2)
	v_mov_b32_e32 v114, v45
	s_waitcnt lgkmcnt(1)
	v_pk_mul_f32 v[108:109], v[54:55], v[116:117] op_sel_hi:[1,0]
	s_waitcnt vmcnt(1)
	v_mov_b32_e32 v110, v49
	v_pk_fma_f32 v[148:149], v[54:55], v[40:41], v[108:109] op_sel:[0,0,1] op_sel_hi:[1,1,0] neg_lo:[0,0,1] neg_hi:[0,0,1]
	v_pk_fma_f32 v[150:151], v[54:55], v[40:41], v[108:109] op_sel:[0,0,1] op_sel_hi:[1,0,0]
	v_pk_mul_f32 v[54:55], v[56:57], v[42:43] op_sel:[0,1]
	s_waitcnt vmcnt(0)
	v_mov_b32_e32 v112, v53
	v_pk_fma_f32 v[152:153], v[56:57], v[42:43], v[54:55] op_sel:[0,0,1] op_sel_hi:[1,1,0] neg_lo:[0,0,1] neg_hi:[0,0,1]
	v_pk_fma_f32 v[154:155], v[56:57], v[42:43], v[54:55] op_sel:[0,0,1] op_sel_hi:[1,0,0]
	s_waitcnt lgkmcnt(0)
	v_pk_mul_f32 v[54:55], v[126:127], v[114:115] op_sel_hi:[1,0]
	v_mov_b32_e32 v141, v143
	v_pk_fma_f32 v[156:157], v[126:127], v[44:45], v[54:55] op_sel:[0,0,1] op_sel_hi:[1,1,0] neg_lo:[0,0,1] neg_hi:[0,0,1]
	v_pk_fma_f32 v[158:159], v[126:127], v[44:45], v[54:55] op_sel:[0,0,1] op_sel_hi:[1,0,0]
	v_pk_mul_f32 v[54:55], v[128:129], v[46:47] op_sel:[0,1]
	v_mov_b32_e32 v157, v159
	v_pk_fma_f32 v[160:161], v[128:129], v[46:47], v[54:55] op_sel:[0,0,1] op_sel_hi:[1,1,0] neg_lo:[0,0,1] neg_hi:[0,0,1]
	v_pk_fma_f32 v[162:163], v[128:129], v[46:47], v[54:55] op_sel:[0,0,1] op_sel_hi:[1,0,0]
	ds_read2st64_b64 v[54:57], v1 offset0:40 offset1:44
	ds_read2st64_b64 v[126:129], v1 offset0:48 offset1:52
	v_mov_b32_e32 v133, v135
	v_mov_b32_e32 v137, v139
	;; [unrolled: 1-line block ×3, first 2 shown]
	s_waitcnt lgkmcnt(1)
	v_pk_mul_f32 v[108:109], v[54:55], v[110:111] op_sel_hi:[1,0]
	v_mov_b32_e32 v145, v147
	v_pk_fma_f32 v[164:165], v[54:55], v[48:49], v[108:109] op_sel:[0,0,1] op_sel_hi:[1,1,0] neg_lo:[0,0,1] neg_hi:[0,0,1]
	v_pk_fma_f32 v[166:167], v[54:55], v[48:49], v[108:109] op_sel:[0,0,1] op_sel_hi:[1,0,0]
	v_pk_mul_f32 v[54:55], v[56:57], v[50:51] op_sel:[0,1]
	v_mov_b32_e32 v165, v167
	v_pk_fma_f32 v[168:169], v[56:57], v[50:51], v[54:55] op_sel:[0,0,1] op_sel_hi:[1,1,0] neg_lo:[0,0,1] neg_hi:[0,0,1]
	v_pk_fma_f32 v[170:171], v[56:57], v[50:51], v[54:55] op_sel:[0,0,1] op_sel_hi:[1,0,0]
	s_waitcnt lgkmcnt(0)
	v_pk_mul_f32 v[54:55], v[126:127], v[112:113] op_sel_hi:[1,0]
	v_mov_b32_e32 v161, v163
	v_pk_fma_f32 v[172:173], v[126:127], v[52:53], v[54:55] op_sel:[0,0,1] op_sel_hi:[1,1,0] neg_lo:[0,0,1] neg_hi:[0,0,1]
	v_pk_fma_f32 v[174:175], v[126:127], v[52:53], v[54:55] op_sel:[0,0,1] op_sel_hi:[1,0,0]
	global_load_dwordx2 v[108:109], v[130:131], off offset:2032
	global_load_dwordx4 v[54:57], v[130:131], off offset:2016
	v_mov_b32_e32 v173, v175
	v_pk_add_f32 v[134:135], v[140:141], v[172:173] neg_lo:[0,1] neg_hi:[0,1]
	v_mov_b32_e32 v153, v155
	v_pk_fma_f32 v[138:139], v[140:141], 2.0, v[134:135] op_sel_hi:[1,0,1] neg_lo:[0,0,1] neg_hi:[0,0,1]
	v_mov_b32_e32 v169, v171
	s_waitcnt vmcnt(0)
	v_pk_mul_f32 v[126:127], v[128:129], v[54:55] op_sel:[0,1]
	s_nop 0
	v_pk_fma_f32 v[130:131], v[128:129], v[54:55], v[126:127] op_sel:[0,0,1] op_sel_hi:[1,1,0] neg_lo:[0,0,1] neg_hi:[0,0,1]
	v_pk_fma_f32 v[176:177], v[128:129], v[54:55], v[126:127] op_sel:[0,0,1] op_sel_hi:[1,0,0]
	ds_read2st64_b64 v[126:129], v1 offset0:56 offset1:60
	v_mov_b32_e32 v118, v57
	v_mov_b32_e32 v131, v177
	v_pk_add_f32 v[130:131], v[144:145], v[130:131] neg_lo:[0,1] neg_hi:[0,1]
	s_waitcnt lgkmcnt(0)
	v_pk_mul_f32 v[178:179], v[126:127], v[118:119] op_sel_hi:[1,0]
	s_nop 0
	v_pk_fma_f32 v[180:181], v[126:127], v[56:57], v[178:179] op_sel:[0,0,1] op_sel_hi:[1,1,0] neg_lo:[0,0,1] neg_hi:[0,0,1]
	v_pk_fma_f32 v[178:179], v[126:127], v[56:57], v[178:179] op_sel:[0,0,1] op_sel_hi:[1,0,0]
	v_pk_mul_f32 v[126:127], v[128:129], v[108:109] op_sel:[0,1]
	v_mov_b32_e32 v181, v179
	v_pk_fma_f32 v[182:183], v[128:129], v[108:109], v[126:127] op_sel:[0,0,1] op_sel_hi:[1,1,0] neg_lo:[0,0,1] neg_hi:[0,0,1]
	v_pk_fma_f32 v[184:185], v[128:129], v[108:109], v[126:127] op_sel:[0,0,1] op_sel_hi:[1,0,0]
	ds_read2st64_b64 v[126:129], v1 offset1:4
	v_pk_add_f32 v[142:143], v[148:149], v[180:181] neg_lo:[0,1] neg_hi:[0,1]
	v_mov_b32_e32 v183, v185
	v_pk_fma_f32 v[146:147], v[148:149], 2.0, v[142:143] op_sel_hi:[1,0,1] neg_lo:[0,0,1] neg_hi:[0,0,1]
	v_pk_fma_f32 v[144:145], v[144:145], 2.0, v[130:131] op_sel_hi:[1,0,1] neg_lo:[0,0,1] neg_hi:[0,0,1]
	s_waitcnt lgkmcnt(0)
	v_pk_mul_f32 v[186:187], v[128:129], v[30:31] op_sel:[0,1]
	v_pk_add_f32 v[154:155], v[152:153], v[182:183] neg_lo:[0,1] neg_hi:[0,1]
	v_pk_fma_f32 v[188:189], v[128:129], v[30:31], v[186:187] op_sel:[0,0,1] op_sel_hi:[1,1,0] neg_lo:[0,0,1] neg_hi:[0,0,1]
	v_pk_fma_f32 v[128:129], v[128:129], v[30:31], v[186:187] op_sel:[0,0,1] op_sel_hi:[1,0,0]
	v_pk_fma_f32 v[152:153], v[152:153], 2.0, v[154:155] op_sel_hi:[1,0,1] neg_lo:[0,0,1] neg_hi:[0,0,1]
	v_mov_b32_e32 v189, v129
	v_pk_add_f32 v[128:129], v[126:127], v[156:157] neg_lo:[0,1] neg_hi:[0,1]
	s_nop 0
	v_pk_add_f32 v[140:141], v[128:129], v[134:135] op_sel:[0,1] op_sel_hi:[1,0] neg_lo:[0,1] neg_hi:[0,1]
	v_pk_add_f32 v[134:135], v[128:129], v[134:135] op_sel:[0,1] op_sel_hi:[1,0]
	v_pk_fma_f32 v[126:127], v[126:127], 2.0, v[128:129] op_sel_hi:[1,0,1] neg_lo:[0,0,1] neg_hi:[0,0,1]
	v_mov_b32_e32 v141, v135
	v_pk_add_f32 v[134:135], v[132:133], v[164:165] neg_lo:[0,1] neg_hi:[0,1]
	v_pk_fma_f32 v[128:129], v[128:129], 2.0, v[140:141] op_sel_hi:[1,0,1] neg_lo:[0,0,1] neg_hi:[0,0,1]
	v_pk_add_f32 v[148:149], v[134:135], v[142:143] op_sel:[0,1] op_sel_hi:[1,0] neg_lo:[0,1] neg_hi:[0,1]
	v_pk_add_f32 v[142:143], v[134:135], v[142:143] op_sel:[0,1] op_sel_hi:[1,0]
	v_pk_fma_f32 v[132:133], v[132:133], 2.0, v[134:135] op_sel_hi:[1,0,1] neg_lo:[0,0,1] neg_hi:[0,0,1]
	v_mov_b32_e32 v149, v143
	v_pk_add_f32 v[142:143], v[188:189], v[160:161] neg_lo:[0,1] neg_hi:[0,1]
	v_pk_fma_f32 v[134:135], v[134:135], 2.0, v[148:149] op_sel_hi:[1,0,1] neg_lo:[0,0,1] neg_hi:[0,0,1]
	v_pk_add_f32 v[150:151], v[142:143], v[130:131] op_sel:[0,1] op_sel_hi:[1,0] neg_lo:[0,1] neg_hi:[0,1]
	v_pk_add_f32 v[130:131], v[142:143], v[130:131] op_sel:[0,1] op_sel_hi:[1,0]
	v_pk_add_f32 v[138:139], v[126:127], v[138:139] neg_lo:[0,1] neg_hi:[0,1]
	v_mov_b32_e32 v151, v131
	v_pk_add_f32 v[130:131], v[136:137], v[168:169] neg_lo:[0,1] neg_hi:[0,1]
	v_pk_fma_f32 v[126:127], v[126:127], 2.0, v[138:139] op_sel_hi:[1,0,1] neg_lo:[0,0,1] neg_hi:[0,0,1]
	v_pk_add_f32 v[156:157], v[130:131], v[154:155] op_sel:[0,1] op_sel_hi:[1,0] neg_lo:[0,1] neg_hi:[0,1]
	v_pk_add_f32 v[154:155], v[130:131], v[154:155] op_sel:[0,1] op_sel_hi:[1,0]
	v_pk_fma_f32 v[136:137], v[136:137], 2.0, v[130:131] op_sel_hi:[1,0,1] neg_lo:[0,0,1] neg_hi:[0,0,1]
	v_mov_b32_e32 v157, v155
	v_pk_mul_f32 v[154:155], v[134:135], s[2:3] op_sel_hi:[1,0]
	v_pk_fma_f32 v[134:135], v[134:135], s[2:3], v[128:129] op_sel_hi:[1,0,1] neg_lo:[1,0,0] neg_hi:[1,0,0]
	v_pk_fma_f32 v[130:131], v[130:131], 2.0, v[156:157] op_sel_hi:[1,0,1] neg_lo:[0,0,1] neg_hi:[0,0,1]
	v_pk_add_f32 v[158:159], v[134:135], v[154:155] op_sel:[0,1] op_sel_hi:[1,0] neg_lo:[0,1] neg_hi:[0,1]
	v_pk_add_f32 v[134:135], v[134:135], v[154:155] op_sel:[0,1] op_sel_hi:[1,0]
	v_pk_fma_f32 v[154:155], v[188:189], 2.0, v[142:143] op_sel_hi:[1,0,1] neg_lo:[0,0,1] neg_hi:[0,0,1]
	v_pk_fma_f32 v[142:143], v[142:143], 2.0, v[150:151] op_sel_hi:[1,0,1] neg_lo:[0,0,1] neg_hi:[0,0,1]
	v_pk_mul_f32 v[160:161], v[130:131], s[2:3] op_sel_hi:[1,0]
	v_pk_fma_f32 v[130:131], v[130:131], s[2:3], v[142:143] op_sel_hi:[1,0,1] neg_lo:[1,0,0] neg_hi:[1,0,0]
	v_mov_b32_e32 v159, v135
	v_pk_add_f32 v[162:163], v[130:131], v[160:161] op_sel:[0,1] op_sel_hi:[1,0] neg_lo:[0,1] neg_hi:[0,1]
	v_pk_add_f32 v[130:131], v[130:131], v[160:161] op_sel:[0,1] op_sel_hi:[1,0]
	v_pk_fma_f32 v[128:129], v[128:129], 2.0, v[158:159] op_sel_hi:[1,0,1] neg_lo:[0,0,1] neg_hi:[0,0,1]
	v_mov_b32_e32 v163, v131
	v_pk_fma_f32 v[142:143], v[142:143], 2.0, v[162:163] op_sel_hi:[1,0,1] neg_lo:[0,0,1] neg_hi:[0,0,1]
	v_pk_add_f32 v[144:145], v[154:155], v[144:145] neg_lo:[0,1] neg_hi:[0,1]
	v_pk_fma_f32 v[160:161], v[142:143], s[8:9], v[128:129] op_sel_hi:[1,0,1] neg_lo:[1,0,0] neg_hi:[1,0,0]
	v_pk_mul_f32 v[142:143], v[142:143], s[12:13] op_sel_hi:[1,0]
	v_pk_add_f32 v[152:153], v[136:137], v[152:153] neg_lo:[0,1] neg_hi:[0,1]
	v_pk_add_f32 v[164:165], v[160:161], v[142:143] op_sel:[0,1] op_sel_hi:[1,0] neg_lo:[0,1] neg_hi:[0,1]
	v_pk_add_f32 v[142:143], v[160:161], v[142:143] op_sel:[0,1] op_sel_hi:[1,0]
	v_pk_fma_f32 v[136:137], v[136:137], 2.0, v[152:153] op_sel_hi:[1,0,1] neg_lo:[0,0,1] neg_hi:[0,0,1]
	v_mov_b32_e32 v165, v143
	v_pk_add_f32 v[142:143], v[132:133], v[146:147] neg_lo:[0,1] neg_hi:[0,1]
	v_pk_fma_f32 v[146:147], v[154:155], 2.0, v[144:145] op_sel_hi:[1,0,1] neg_lo:[0,0,1] neg_hi:[0,0,1]
	v_pk_fma_f32 v[132:133], v[132:133], 2.0, v[142:143] op_sel_hi:[1,0,1] neg_lo:[0,0,1] neg_hi:[0,0,1]
	v_pk_add_f32 v[136:137], v[146:147], v[136:137] neg_lo:[0,1] neg_hi:[0,1]
	v_pk_add_f32 v[132:133], v[126:127], v[132:133] neg_lo:[0,1] neg_hi:[0,1]
	v_pk_fma_f32 v[146:147], v[146:147], 2.0, v[136:137] op_sel_hi:[1,0,1] neg_lo:[0,0,1] neg_hi:[0,0,1]
	v_pk_fma_f32 v[126:127], v[126:127], 2.0, v[132:133] op_sel_hi:[1,0,1] neg_lo:[0,0,1] neg_hi:[0,0,1]
	;; [unrolled: 1-line block ×3, first 2 shown]
	v_pk_add_f32 v[146:147], v[126:127], v[146:147] neg_lo:[0,1] neg_hi:[0,1]
	v_pk_fma_f32 v[154:155], v[156:157], s[2:3], v[150:151] op_sel_hi:[1,0,1]
	v_pk_fma_f32 v[126:127], v[126:127], 2.0, v[146:147] op_sel_hi:[1,0,1] neg_lo:[0,0,1] neg_hi:[0,0,1]
	ds_write2st64_b64 v1, v[126:127], v[128:129] offset1:4
	v_pk_add_f32 v[126:127], v[138:139], v[142:143] op_sel:[0,1] op_sel_hi:[1,0] neg_lo:[0,1] neg_hi:[0,1]
	v_pk_add_f32 v[128:129], v[138:139], v[142:143] op_sel:[0,1] op_sel_hi:[1,0]
	v_pk_add_f32 v[142:143], v[144:145], v[152:153] op_sel:[0,1] op_sel_hi:[1,0]
	v_mov_b32_e32 v127, v129
	v_pk_add_f32 v[128:129], v[144:145], v[152:153] op_sel:[0,1] op_sel_hi:[1,0] neg_lo:[0,1] neg_hi:[0,1]
	v_pk_fma_f32 v[138:139], v[138:139], 2.0, v[126:127] op_sel_hi:[1,0,1] neg_lo:[0,0,1] neg_hi:[0,0,1]
	v_mov_b32_e32 v129, v143
	v_pk_fma_f32 v[142:143], v[144:145], 2.0, v[128:129] op_sel_hi:[1,0,1] neg_lo:[0,0,1] neg_hi:[0,0,1]
	s_nop 0
	v_pk_mul_f32 v[144:145], v[142:143], s[2:3] op_sel_hi:[1,0]
	v_pk_fma_f32 v[142:143], v[142:143], s[2:3], v[138:139] op_sel_hi:[1,0,1] neg_lo:[1,0,0] neg_hi:[1,0,0]
	s_nop 0
	v_pk_add_f32 v[152:153], v[142:143], v[144:145] op_sel:[0,1] op_sel_hi:[1,0] neg_lo:[0,1] neg_hi:[0,1]
	v_pk_add_f32 v[142:143], v[142:143], v[144:145] op_sel:[0,1] op_sel_hi:[1,0]
	v_pk_fma_f32 v[144:145], v[148:149], s[2:3], v[140:141] op_sel_hi:[1,0,1]
	v_mov_b32_e32 v153, v143
	v_pk_mul_f32 v[142:143], v[148:149], s[2:3] op_sel_hi:[1,0]
	v_pk_fma_f32 v[138:139], v[138:139], 2.0, v[152:153] op_sel_hi:[1,0,1] neg_lo:[0,0,1] neg_hi:[0,0,1]
	v_pk_add_f32 v[148:149], v[144:145], v[142:143] op_sel:[0,1] op_sel_hi:[1,0] neg_lo:[0,1] neg_hi:[0,1]
	v_pk_add_f32 v[142:143], v[144:145], v[142:143] op_sel:[0,1] op_sel_hi:[1,0]
	v_pk_mul_f32 v[144:145], v[156:157], s[2:3] op_sel_hi:[1,0]
	v_mov_b32_e32 v149, v143
	v_pk_add_f32 v[156:157], v[154:155], v[144:145] op_sel:[0,1] op_sel_hi:[1,0] neg_lo:[0,1] neg_hi:[0,1]
	v_pk_add_f32 v[144:145], v[154:155], v[144:145] op_sel:[0,1] op_sel_hi:[1,0]
	v_pk_fma_f32 v[140:141], v[140:141], 2.0, v[148:149] op_sel_hi:[1,0,1] neg_lo:[0,0,1] neg_hi:[0,0,1]
	v_mov_b32_e32 v157, v145
	v_pk_fma_f32 v[150:151], v[150:151], 2.0, v[156:157] op_sel_hi:[1,0,1] neg_lo:[0,0,1] neg_hi:[0,0,1]
	s_nop 0
	v_pk_fma_f32 v[154:155], v[150:151], s[12:13], v[140:141] op_sel_hi:[1,0,1] neg_lo:[1,0,0] neg_hi:[1,0,0]
	v_pk_mul_f32 v[150:151], v[150:151], s[8:9] op_sel_hi:[1,0]
	s_nop 0
	v_pk_add_f32 v[160:161], v[154:155], v[150:151] op_sel:[0,1] op_sel_hi:[1,0] neg_lo:[0,1] neg_hi:[0,1]
	v_pk_add_f32 v[150:151], v[154:155], v[150:151] op_sel:[0,1] op_sel_hi:[1,0]
	s_nop 0
	v_mov_b32_e32 v161, v151
	v_pk_fma_f32 v[140:141], v[140:141], 2.0, v[160:161] op_sel_hi:[1,0,1] neg_lo:[0,0,1] neg_hi:[0,0,1]
	ds_write2st64_b64 v1, v[138:139], v[140:141] offset0:8 offset1:12
	v_fmamk_f32 v139, v131, 0x3ec3ef15, v135
	v_fmamk_f32 v138, v162, 0x3ec3ef15, v158
	v_fmac_f32_e32 v139, 0x3f6c835e, v162
	v_fmac_f32_e32 v138, 0xbf6c835e, v131
	v_fma_f32 v131, v135, 2.0, -v139
	v_pk_add_f32 v[134:135], v[132:133], v[136:137] op_sel:[0,1] op_sel_hi:[1,0] neg_lo:[0,1] neg_hi:[0,1]
	v_pk_add_f32 v[136:137], v[132:133], v[136:137] op_sel:[0,1] op_sel_hi:[1,0]
	v_fma_f32 v130, v158, 2.0, -v138
	v_mov_b32_e32 v135, v137
	v_pk_fma_f32 v[132:133], v[132:133], 2.0, v[134:135] op_sel_hi:[1,0,1] neg_lo:[0,0,1] neg_hi:[0,0,1]
	v_pk_mul_f32 v[136:137], v[128:129], s[2:3] op_sel_hi:[1,0]
	v_pk_fma_f32 v[128:129], v[128:129], s[2:3], v[126:127] op_sel_hi:[1,0,1]
	ds_write2st64_b64 v1, v[132:133], v[130:131] offset0:16 offset1:20
	v_fmamk_f32 v130, v156, 0x3f6c835e, v148
	v_fmamk_f32 v131, v145, 0x3f6c835e, v143
	v_pk_add_f32 v[140:141], v[128:129], v[136:137] op_sel:[0,1] op_sel_hi:[1,0] neg_lo:[0,1] neg_hi:[0,1]
	v_pk_add_f32 v[128:129], v[128:129], v[136:137] op_sel:[0,1] op_sel_hi:[1,0]
	v_fmac_f32_e32 v130, 0xbec3ef15, v145
	v_fmac_f32_e32 v131, 0x3ec3ef15, v156
	v_mov_b32_e32 v141, v129
	v_fma_f32 v132, v148, 2.0, -v130
	v_fma_f32 v133, v143, 2.0, -v131
	v_pk_fma_f32 v[126:127], v[126:127], 2.0, v[140:141] op_sel_hi:[1,0,1] neg_lo:[0,0,1] neg_hi:[0,0,1]
	ds_write2st64_b64 v1, v[126:127], v[132:133] offset0:24 offset1:28
	ds_write2st64_b64 v1, v[146:147], v[164:165] offset0:32 offset1:36
	;; [unrolled: 1-line block ×5, first 2 shown]
	s_waitcnt lgkmcnt(0)
	s_barrier
	global_load_dwordx2 v[128:129], v1, s[14:15]
	global_load_dwordx2 v[130:131], v1, s[14:15] offset:2048
	global_load_dwordx2 v[132:133], v113, s[14:15]
	global_load_dwordx2 v[134:135], v123, s[14:15]
	;; [unrolled: 1-line block ×3, first 2 shown]
                                        ; kill: killed $vgpr123
                                        ; kill: killed $vgpr113
                                        ; kill: killed $vgpr124
	global_load_dwordx2 v[138:139], v111, s[14:15]
	global_load_dwordx2 v[140:141], v117, s[14:15]
	global_load_dwordx2 v[142:143], v119, s[14:15]
	global_load_dwordx2 v[144:145], v121, s[14:15]
	global_load_dwordx2 v[146:147], v103, s[14:15]
	global_load_dwordx2 v[148:149], v105, s[14:15]
	global_load_dwordx2 v[150:151], v115, s[14:15]
	ds_read2st64_b64 v[124:127], v1 offset1:4
	global_load_dwordx2 v[152:153], v107, s[14:15]
	global_load_dwordx2 v[160:161], v99, s[14:15]
	s_waitcnt vmcnt(13) lgkmcnt(0)
	v_mul_f32_e32 v33, v125, v129
	v_mul_f32_e32 v155, v124, v129
	v_fma_f32 v154, v124, v128, -v33
	v_fmac_f32_e32 v155, v125, v128
	global_load_dwordx2 v[128:129], v95, s[14:15]
	s_waitcnt vmcnt(13)
	v_mul_f32_e32 v33, v127, v131
	v_mul_f32_e32 v157, v126, v131
	v_fma_f32 v156, v126, v130, -v33
	v_fmac_f32_e32 v157, v127, v130
	global_load_dwordx2 v[130:131], v97, s[14:15]
	ds_read2st64_b64 v[124:127], v1 offset0:8 offset1:12
	s_waitcnt vmcnt(13) lgkmcnt(0)
	v_mul_f32_e32 v33, v125, v133
	v_fma_f32 v158, v124, v132, -v33
	v_mul_f32_e32 v159, v124, v133
	s_waitcnt vmcnt(12)
	v_mul_f32_e32 v33, v127, v135
	v_mul_f32_e32 v133, v126, v135
	v_fmac_f32_e32 v159, v125, v132
	v_fma_f32 v132, v126, v134, -v33
	v_fmac_f32_e32 v133, v127, v134
	ds_read2st64_b64 v[124:127], v1 offset0:16 offset1:20
	s_waitcnt vmcnt(11) lgkmcnt(0)
	v_mul_f32_e32 v33, v125, v137
	v_fma_f32 v134, v124, v136, -v33
	v_mul_f32_e32 v135, v124, v137
	s_waitcnt vmcnt(10)
	v_mul_f32_e32 v33, v127, v139
	v_mul_f32_e32 v137, v126, v139
	v_fmac_f32_e32 v135, v125, v136
	v_fma_f32 v136, v126, v138, -v33
	v_fmac_f32_e32 v137, v127, v138
	;; [unrolled: 11-line block ×5, first 2 shown]
	ds_read2st64_b64 v[124:127], v1 offset0:48 offset1:52
	s_waitcnt vmcnt(3) lgkmcnt(0)
	v_mul_f32_e32 v33, v125, v153
	v_fma_f32 v150, v124, v152, -v33
	v_mul_f32_e32 v151, v124, v153
	v_fmac_f32_e32 v151, v125, v152
	s_waitcnt vmcnt(1)
	v_mul_f32_e32 v33, v127, v129
	v_mul_f32_e32 v153, v126, v129
	v_fma_f32 v152, v126, v128, -v33
	v_fmac_f32_e32 v153, v127, v128
	ds_read2st64_b64 v[124:127], v1 offset0:56 offset1:60
	s_waitcnt vmcnt(0) lgkmcnt(0)
	v_mul_f32_e32 v33, v125, v131
	v_mul_f32_e32 v129, v124, v131
	v_fma_f32 v128, v124, v130, -v33
	v_fmac_f32_e32 v129, v125, v130
	v_mul_f32_e32 v33, v127, v161
	v_mul_f32_e32 v125, v126, v161
	v_fma_f32 v124, v126, v160, -v33
	v_fmac_f32_e32 v125, v127, v160
	ds_write2st64_b64 v1, v[154:155], v[156:157] offset1:4
	ds_write2st64_b64 v1, v[158:159], v[132:133] offset0:8 offset1:12
	ds_write2st64_b64 v1, v[134:135], v[136:137] offset0:16 offset1:20
	;; [unrolled: 1-line block ×7, first 2 shown]
	s_waitcnt lgkmcnt(0)
	s_barrier
	ds_read2st64_b64 v[124:127], v1 offset1:4
	ds_read2st64_b64 v[128:131], v1 offset0:32 offset1:36
	ds_read2st64_b64 v[132:135], v1 offset0:16 offset1:20
	;; [unrolled: 1-line block ×3, first 2 shown]
	s_waitcnt lgkmcnt(2)
	v_pk_add_f32 v[140:141], v[124:125], v[128:129] neg_lo:[0,1] neg_hi:[0,1]
	v_pk_add_f32 v[142:143], v[126:127], v[130:131] neg_lo:[0,1] neg_hi:[0,1]
	s_waitcnt lgkmcnt(0)
	v_pk_add_f32 v[148:149], v[132:133], v[136:137] neg_lo:[0,1] neg_hi:[0,1]
	v_pk_add_f32 v[150:151], v[134:135], v[138:139] neg_lo:[0,1] neg_hi:[0,1]
	v_pk_fma_f32 v[144:145], v[124:125], 2.0, v[140:141] op_sel_hi:[1,0,1] neg_lo:[0,0,1] neg_hi:[0,0,1]
	v_pk_fma_f32 v[146:147], v[126:127], 2.0, v[142:143] op_sel_hi:[1,0,1] neg_lo:[0,0,1] neg_hi:[0,0,1]
	ds_read2st64_b64 v[124:127], v1 offset0:8 offset1:12
	ds_read2st64_b64 v[128:131], v1 offset0:40 offset1:44
	v_pk_fma_f32 v[152:153], v[132:133], 2.0, v[148:149] op_sel_hi:[1,0,1] neg_lo:[0,0,1] neg_hi:[0,0,1]
	v_pk_fma_f32 v[154:155], v[134:135], 2.0, v[150:151] op_sel_hi:[1,0,1] neg_lo:[0,0,1] neg_hi:[0,0,1]
	ds_read2st64_b64 v[132:135], v1 offset0:24 offset1:28
	ds_read2st64_b64 v[136:139], v1 offset0:56 offset1:60
	v_pk_add_f32 v[156:157], v[140:141], v[148:149] op_sel:[0,1] op_sel_hi:[1,0]
	s_waitcnt lgkmcnt(2)
	v_pk_add_f32 v[128:129], v[124:125], v[128:129] neg_lo:[0,1] neg_hi:[0,1]
	v_pk_add_f32 v[148:149], v[140:141], v[148:149] op_sel:[0,1] op_sel_hi:[1,0] neg_lo:[0,1] neg_hi:[0,1]
	v_pk_add_f32 v[130:131], v[126:127], v[130:131] neg_lo:[0,1] neg_hi:[0,1]
	s_waitcnt lgkmcnt(0)
	v_pk_add_f32 v[136:137], v[132:133], v[136:137] neg_lo:[0,1] neg_hi:[0,1]
	v_mov_b32_e32 v157, v149
	v_pk_fma_f32 v[132:133], v[132:133], 2.0, v[136:137] op_sel_hi:[1,0,1] neg_lo:[0,0,1] neg_hi:[0,0,1]
	v_pk_add_f32 v[148:149], v[128:129], v[136:137] op_sel:[0,1] op_sel_hi:[1,0]
	v_pk_add_f32 v[136:137], v[128:129], v[136:137] op_sel:[0,1] op_sel_hi:[1,0] neg_lo:[0,1] neg_hi:[0,1]
	v_pk_add_f32 v[138:139], v[134:135], v[138:139] neg_lo:[0,1] neg_hi:[0,1]
	v_mov_b32_e32 v149, v137
	v_pk_add_f32 v[136:137], v[142:143], v[150:151] op_sel:[0,1] op_sel_hi:[1,0]
	v_pk_add_f32 v[150:151], v[142:143], v[150:151] op_sel:[0,1] op_sel_hi:[1,0] neg_lo:[0,1] neg_hi:[0,1]
	v_pk_fma_f32 v[134:135], v[134:135], 2.0, v[138:139] op_sel_hi:[1,0,1] neg_lo:[0,0,1] neg_hi:[0,0,1]
	v_mov_b32_e32 v137, v151
	v_pk_add_f32 v[150:151], v[130:131], v[138:139] op_sel:[0,1] op_sel_hi:[1,0]
	v_pk_add_f32 v[138:139], v[130:131], v[138:139] op_sel:[0,1] op_sel_hi:[1,0] neg_lo:[0,1] neg_hi:[0,1]
	v_pk_fma_f32 v[124:125], v[124:125], 2.0, v[128:129] op_sel_hi:[1,0,1] neg_lo:[0,0,1] neg_hi:[0,0,1]
	v_mov_b32_e32 v151, v139
	v_pk_fma_f32 v[138:139], v[140:141], 2.0, v[156:157] op_sel_hi:[1,0,1] neg_lo:[0,0,1] neg_hi:[0,0,1]
	v_pk_fma_f32 v[128:129], v[128:129], 2.0, v[148:149] op_sel_hi:[1,0,1] neg_lo:[0,0,1] neg_hi:[0,0,1]
	;; [unrolled: 1-line block ×3, first 2 shown]
	v_pk_mul_f32 v[140:141], v[128:129], s[2:3] op_sel_hi:[1,0]
	v_pk_fma_f32 v[128:129], v[128:129], s[2:3], v[138:139] op_sel_hi:[1,0,1] neg_lo:[1,0,0] neg_hi:[1,0,0]
	v_pk_fma_f32 v[130:131], v[130:131], 2.0, v[150:151] op_sel_hi:[1,0,1] neg_lo:[0,0,1] neg_hi:[0,0,1]
	v_pk_add_f32 v[158:159], v[128:129], v[140:141] op_sel:[0,1] op_sel_hi:[1,0]
	v_pk_add_f32 v[140:141], v[128:129], v[140:141] op_sel:[0,1] op_sel_hi:[1,0] neg_lo:[0,1] neg_hi:[0,1]
	v_pk_fma_f32 v[128:129], v[142:143], 2.0, v[136:137] op_sel_hi:[1,0,1] neg_lo:[0,0,1] neg_hi:[0,0,1]
	v_pk_mul_f32 v[142:143], v[130:131], s[2:3] op_sel_hi:[1,0]
	v_pk_fma_f32 v[130:131], v[130:131], s[2:3], v[128:129] op_sel_hi:[1,0,1] neg_lo:[1,0,0] neg_hi:[1,0,0]
	v_pk_add_f32 v[152:153], v[144:145], v[152:153] neg_lo:[0,1] neg_hi:[0,1]
	v_pk_add_f32 v[160:161], v[130:131], v[142:143] op_sel:[0,1] op_sel_hi:[1,0]
	v_pk_add_f32 v[142:143], v[130:131], v[142:143] op_sel:[0,1] op_sel_hi:[1,0] neg_lo:[0,1] neg_hi:[0,1]
	v_pk_fma_f32 v[130:131], v[144:145], 2.0, v[152:153] op_sel_hi:[1,0,1] neg_lo:[0,0,1] neg_hi:[0,0,1]
	v_pk_add_f32 v[144:145], v[146:147], v[154:155] neg_lo:[0,1] neg_hi:[0,1]
	v_pk_add_f32 v[134:135], v[126:127], v[134:135] neg_lo:[0,1] neg_hi:[0,1]
	v_pk_add_f32 v[132:133], v[124:125], v[132:133] neg_lo:[0,1] neg_hi:[0,1]
	v_pk_fma_f32 v[146:147], v[146:147], 2.0, v[144:145] op_sel_hi:[1,0,1] neg_lo:[0,0,1] neg_hi:[0,0,1]
	v_pk_fma_f32 v[126:127], v[126:127], 2.0, v[134:135] op_sel_hi:[1,0,1] neg_lo:[0,0,1] neg_hi:[0,0,1]
	v_mov_b32_e32 v159, v141
	v_mov_b32_e32 v161, v143
	v_pk_fma_f32 v[124:125], v[124:125], 2.0, v[132:133] op_sel_hi:[1,0,1] neg_lo:[0,0,1] neg_hi:[0,0,1]
	v_pk_add_f32 v[162:163], v[146:147], v[126:127] neg_lo:[0,1] neg_hi:[0,1]
	v_pk_fma_f32 v[138:139], v[138:139], 2.0, v[158:159] op_sel_hi:[1,0,1] neg_lo:[0,0,1] neg_hi:[0,0,1]
	v_pk_fma_f32 v[126:127], v[128:129], 2.0, v[160:161] op_sel_hi:[1,0,1] neg_lo:[0,0,1] neg_hi:[0,0,1]
	v_pk_add_f32 v[154:155], v[130:131], v[124:125] neg_lo:[0,1] neg_hi:[0,1]
	v_pk_fma_f32 v[124:125], v[146:147], 2.0, v[162:163] op_sel_hi:[1,0,1] neg_lo:[0,0,1] neg_hi:[0,0,1]
	v_pk_fma_f32 v[128:129], v[126:127], s[8:9], v[138:139] op_sel_hi:[1,0,1] neg_lo:[1,0,0] neg_hi:[1,0,0]
	v_pk_mul_f32 v[146:147], v[126:127], s[12:13] op_sel_hi:[1,0]
	v_pk_fma_f32 v[130:131], v[130:131], 2.0, v[154:155] op_sel_hi:[1,0,1] neg_lo:[0,0,1] neg_hi:[0,0,1]
	v_pk_add_f32 v[126:127], v[128:129], v[146:147] op_sel:[0,1] op_sel_hi:[1,0]
	v_pk_add_f32 v[146:147], v[128:129], v[146:147] op_sel:[0,1] op_sel_hi:[1,0] neg_lo:[0,1] neg_hi:[0,1]
	v_pk_add_f32 v[124:125], v[130:131], v[124:125] neg_lo:[0,1] neg_hi:[0,1]
	v_mov_b32_e32 v127, v147
	v_pk_add_f32 v[166:167], v[152:153], v[132:133] op_sel:[0,1] op_sel_hi:[1,0]
	v_pk_add_f32 v[168:169], v[152:153], v[132:133] op_sel:[0,1] op_sel_hi:[1,0] neg_lo:[0,1] neg_hi:[0,1]
	v_pk_fma_f32 v[128:129], v[130:131], 2.0, v[124:125] op_sel_hi:[1,0,1] neg_lo:[0,0,1] neg_hi:[0,0,1]
	v_pk_fma_f32 v[130:131], v[138:139], 2.0, v[126:127] op_sel_hi:[1,0,1] neg_lo:[0,0,1] neg_hi:[0,0,1]
	v_mov_b32_e32 v167, v169
	s_barrier
	ds_write_b128 v91, v[128:131]
	v_pk_mul_f32 v[128:129], v[148:149], s[2:3] op_sel_hi:[1,0]
	v_pk_fma_f32 v[130:131], v[148:149], s[2:3], v[156:157] op_sel_hi:[1,0,1]
	v_pk_fma_f32 v[132:133], v[152:153], 2.0, v[166:167] op_sel_hi:[1,0,1] neg_lo:[0,0,1] neg_hi:[0,0,1]
	v_pk_add_f32 v[152:153], v[144:145], v[134:135] op_sel:[0,1] op_sel_hi:[1,0]
	v_pk_add_f32 v[170:171], v[144:145], v[134:135] op_sel:[0,1] op_sel_hi:[1,0] neg_lo:[0,1] neg_hi:[0,1]
	v_pk_add_f32 v[138:139], v[130:131], v[128:129] op_sel:[0,1] op_sel_hi:[1,0]
	v_pk_add_f32 v[148:149], v[130:131], v[128:129] op_sel:[0,1] op_sel_hi:[1,0] neg_lo:[0,1] neg_hi:[0,1]
	v_pk_mul_f32 v[128:129], v[150:151], s[2:3] op_sel_hi:[1,0]
	v_pk_fma_f32 v[130:131], v[150:151], s[2:3], v[136:137] op_sel_hi:[1,0,1]
	v_mov_b32_e32 v153, v171
	v_pk_add_f32 v[150:151], v[130:131], v[128:129] op_sel:[0,1] op_sel_hi:[1,0]
	v_pk_add_f32 v[164:165], v[130:131], v[128:129] op_sel:[0,1] op_sel_hi:[1,0] neg_lo:[0,1] neg_hi:[0,1]
	v_pk_fma_f32 v[128:129], v[144:145], 2.0, v[152:153] op_sel_hi:[1,0,1] neg_lo:[0,0,1] neg_hi:[0,0,1]
	v_mov_b32_e32 v139, v149
	v_pk_mul_f32 v[130:131], v[128:129], s[2:3] op_sel_hi:[1,0]
	v_pk_fma_f32 v[128:129], v[128:129], s[2:3], v[132:133] op_sel_hi:[1,0,1] neg_lo:[1,0,0] neg_hi:[1,0,0]
	v_mov_b32_e32 v151, v165
	v_pk_add_f32 v[144:145], v[128:129], v[130:131] op_sel:[0,1] op_sel_hi:[1,0] neg_lo:[0,1] neg_hi:[0,1]
	v_pk_add_f32 v[128:129], v[128:129], v[130:131] op_sel:[0,1] op_sel_hi:[1,0]
	v_pk_fma_f32 v[134:135], v[156:157], 2.0, v[138:139] op_sel_hi:[1,0,1] neg_lo:[0,0,1] neg_hi:[0,0,1]
	v_pk_fma_f32 v[130:131], v[136:137], 2.0, v[150:151] op_sel_hi:[1,0,1] neg_lo:[0,0,1] neg_hi:[0,0,1]
	v_mov_b32_e32 v129, v145
	v_pk_fma_f32 v[136:137], v[130:131], s[12:13], v[134:135] op_sel_hi:[1,0,1] neg_lo:[1,0,0] neg_hi:[1,0,0]
	v_pk_mul_f32 v[156:157], v[130:131], s[8:9] op_sel_hi:[1,0]
	v_pk_fma_f32 v[132:133], v[132:133], 2.0, v[128:129] op_sel_hi:[1,0,1] neg_lo:[0,0,1] neg_hi:[0,0,1]
	v_pk_add_f32 v[130:131], v[136:137], v[156:157] op_sel:[0,1] op_sel_hi:[1,0]
	v_pk_add_f32 v[136:137], v[136:137], v[156:157] op_sel:[0,1] op_sel_hi:[1,0] neg_lo:[0,1] neg_hi:[0,1]
	v_mov_b32_e32 v161, v171
	v_mov_b32_e32 v131, v137
	v_pk_fma_f32 v[134:135], v[134:135], 2.0, v[130:131] op_sel_hi:[1,0,1] neg_lo:[0,0,1] neg_hi:[0,0,1]
	ds_write_b128 v91, v[132:135] offset:16
	ds_write_b128 v91, v[124:127] offset:64
	;; [unrolled: 1-line block ×3, first 2 shown]
	v_fmamk_f32 v126, v160, 0x3ec3ef15, v158
	v_pk_add_f32 v[124:125], v[154:155], v[162:163] op_sel:[0,1] op_sel_hi:[1,0]
	v_pk_add_f32 v[130:131], v[154:155], v[162:163] op_sel:[0,1] op_sel_hi:[1,0] neg_lo:[0,1] neg_hi:[0,1]
	v_fmac_f32_e32 v126, 0x3f6c835e, v143
	v_mov_b32_e32 v125, v131
	v_fma_f32 v130, v158, 2.0, -v126
	v_pk_fma_f32 v[128:129], v[154:155], 2.0, v[124:125] op_sel_hi:[1,0,1] neg_lo:[0,0,1] neg_hi:[0,0,1]
	ds_write_b96 v91, v[128:130] offset:32
	ds_write_b96 v91, v[124:126] offset:96
	v_mov_b32_e32 v124, v143
	v_mov_b32_e32 v125, v152
	v_pk_mul_f32 v[126:127], v[170:171], s[8:9]
	v_mov_b32_e32 v128, v141
	v_mov_b32_e32 v129, v166
	v_add_f32_e32 v33, v169, v127
	v_pk_mul_f32 v[126:127], v[124:125], s[12:13]
	v_pk_fma_f32 v[124:125], v[124:125], s[12:13], v[128:129]
	v_sub_f32_e32 v126, v33, v127
	v_pk_fma_f32 v[130:131], v[160:161], s[8:9], v[124:125] neg_lo:[1,0,0] neg_hi:[1,0,0]
	v_pk_fma_f32 v[124:125], v[160:161], s[8:9], v[124:125]
	v_fmamk_f32 v127, v150, 0x3f6c835e, v138
	v_mov_b32_e32 v131, v125
	v_fmamk_f32 v33, v165, 0x3f6c835e, v149
	v_pk_fma_f32 v[124:125], v[128:129], 2.0, v[130:131] op_sel_hi:[1,0,1] neg_lo:[0,0,1] neg_hi:[0,0,1]
	v_fmac_f32_e32 v127, 0x3ec3ef15, v165
	v_fmac_f32_e32 v33, 0xbec3ef15, v150
	ds_write2_b32 v91, v124, v125 offset0:11 offset1:12
	v_mov_b32_e32 v124, v169
	v_mov_b32_e32 v125, v138
	v_pk_fma_f32 v[124:125], v[124:125], 2.0, v[126:127] op_sel_hi:[1,0,1] neg_lo:[0,0,1] neg_hi:[0,0,1]
	v_fma_f32 v37, v149, 2.0, -v33
	ds_write2_b32 v91, v124, v125 offset0:13 offset1:14
	ds_write2_b32 v91, v130, v131 offset0:27 offset1:28
	ds_write2_b32 v91, v126, v127 offset0:29 offset1:30
	ds_write2_b32 v91, v37, v33 offset0:15 offset1:31
	s_waitcnt lgkmcnt(0)
	s_barrier
	ds_read2st64_b64 v[124:127], v1 offset0:56 offset1:60
	ds_read2st64_b64 v[128:131], v1 offset0:48 offset1:52
	s_waitcnt lgkmcnt(1)
	v_pk_mul_f32 v[132:133], v[100:101], v[126:127] op_sel:[1,0]
	v_pk_mul_f32 v[106:107], v[106:107], v[124:125] op_sel_hi:[0,1]
	v_pk_fma_f32 v[134:135], v[100:101], v[126:127], v[132:133] op_sel:[0,0,1] op_sel_hi:[1,1,0]
	v_pk_fma_f32 v[100:101], v[100:101], v[126:127], v[132:133] op_sel:[0,0,1] op_sel_hi:[0,1,0] neg_lo:[0,0,1] neg_hi:[0,0,1]
	v_pk_fma_f32 v[132:133], v[28:29], v[124:125], v[106:107] op_sel:[0,0,1] op_sel_hi:[1,1,0]
	v_pk_fma_f32 v[28:29], v[28:29], v[124:125], v[106:107] op_sel:[0,0,1] op_sel_hi:[0,1,0] neg_lo:[0,0,1] neg_hi:[0,0,1]
	s_waitcnt lgkmcnt(0)
	v_pk_mul_f32 v[106:107], v[26:27], v[130:131] op_sel:[1,0]
	ds_read2st64_b64 v[124:127], v1 offset0:40 offset1:44
	v_pk_fma_f32 v[136:137], v[26:27], v[130:131], v[106:107] op_sel:[0,0,1] op_sel_hi:[1,1,0]
	v_pk_fma_f32 v[106:107], v[26:27], v[130:131], v[106:107] op_sel:[0,0,1] op_sel_hi:[0,1,0] neg_lo:[0,0,1] neg_hi:[0,0,1]
	v_pk_mul_f32 v[26:27], v[104:105], v[128:129] op_sel_hi:[0,1]
	v_pk_fma_f32 v[104:105], v[24:25], v[128:129], v[26:27] op_sel:[0,0,1] op_sel_hi:[1,1,0]
	v_pk_fma_f32 v[128:129], v[24:25], v[128:129], v[26:27] op_sel:[0,0,1] op_sel_hi:[0,1,0] neg_lo:[0,0,1] neg_hi:[0,0,1]
	ds_read2st64_b64 v[24:27], v1 offset0:32 offset1:36
	s_waitcnt lgkmcnt(1)
	v_pk_mul_f32 v[130:131], v[22:23], v[126:127] op_sel:[1,0]
	v_mov_b32_e32 v105, v129
	v_pk_fma_f32 v[138:139], v[22:23], v[126:127], v[130:131] op_sel:[0,0,1] op_sel_hi:[1,1,0]
	v_pk_fma_f32 v[126:127], v[22:23], v[126:127], v[130:131] op_sel:[0,0,1] op_sel_hi:[0,1,0] neg_lo:[0,0,1] neg_hi:[0,0,1]
	v_pk_mul_f32 v[22:23], v[102:103], v[124:125] op_sel_hi:[0,1]
	v_pk_fma_f32 v[102:103], v[20:21], v[124:125], v[22:23] op_sel:[0,0,1] op_sel_hi:[1,1,0]
	v_pk_fma_f32 v[124:125], v[20:21], v[124:125], v[22:23] op_sel:[0,0,1] op_sel_hi:[0,1,0] neg_lo:[0,0,1] neg_hi:[0,0,1]
	s_waitcnt lgkmcnt(0)
	v_pk_mul_f32 v[130:131], v[18:19], v[26:27] op_sel:[1,0]
	ds_read2st64_b64 v[20:23], v1 offset0:24 offset1:28
	v_pk_fma_f32 v[140:141], v[18:19], v[26:27], v[130:131] op_sel:[0,0,1] op_sel_hi:[1,1,0]
	v_pk_fma_f32 v[26:27], v[18:19], v[26:27], v[130:131] op_sel:[0,0,1] op_sel_hi:[0,1,0] neg_lo:[0,0,1] neg_hi:[0,0,1]
	v_pk_mul_f32 v[18:19], v[98:99], v[24:25] op_sel_hi:[0,1]
	v_pk_fma_f32 v[98:99], v[16:17], v[24:25], v[18:19] op_sel:[0,0,1] op_sel_hi:[1,1,0]
	v_pk_fma_f32 v[24:25], v[16:17], v[24:25], v[18:19] op_sel:[0,0,1] op_sel_hi:[0,1,0] neg_lo:[0,0,1] neg_hi:[0,0,1]
	ds_read2st64_b64 v[16:19], v1 offset0:16 offset1:20
	s_waitcnt lgkmcnt(1)
	v_pk_mul_f32 v[130:131], v[14:15], v[22:23] op_sel:[1,0]
	v_mov_b32_e32 v99, v25
	v_pk_fma_f32 v[142:143], v[14:15], v[22:23], v[130:131] op_sel:[0,0,1] op_sel_hi:[1,1,0]
	v_pk_fma_f32 v[22:23], v[14:15], v[22:23], v[130:131] op_sel:[0,0,1] op_sel_hi:[0,1,0] neg_lo:[0,0,1] neg_hi:[0,0,1]
	v_pk_mul_f32 v[14:15], v[96:97], v[20:21] op_sel_hi:[0,1]
	v_pk_fma_f32 v[96:97], v[12:13], v[20:21], v[14:15] op_sel:[0,0,1] op_sel_hi:[1,1,0]
	v_pk_fma_f32 v[20:21], v[12:13], v[20:21], v[14:15] op_sel:[0,0,1] op_sel_hi:[0,1,0] neg_lo:[0,0,1] neg_hi:[0,0,1]
	s_waitcnt lgkmcnt(0)
	v_pk_mul_f32 v[130:131], v[10:11], v[18:19] op_sel:[1,0]
	ds_read2st64_b64 v[12:15], v1 offset0:8 offset1:12
	v_pk_fma_f32 v[144:145], v[10:11], v[18:19], v[130:131] op_sel:[0,0,1] op_sel_hi:[1,1,0]
	v_pk_fma_f32 v[18:19], v[10:11], v[18:19], v[130:131] op_sel:[0,0,1] op_sel_hi:[0,1,0] neg_lo:[0,0,1] neg_hi:[0,0,1]
	v_pk_mul_f32 v[10:11], v[94:95], v[16:17] op_sel_hi:[0,1]
	v_pk_fma_f32 v[94:95], v[8:9], v[16:17], v[10:11] op_sel:[0,0,1] op_sel_hi:[1,1,0]
	v_pk_fma_f32 v[16:17], v[8:9], v[16:17], v[10:11] op_sel:[0,0,1] op_sel_hi:[0,1,0] neg_lo:[0,0,1] neg_hi:[0,0,1]
	ds_read2st64_b64 v[8:11], v1 offset1:4
	s_waitcnt lgkmcnt(1)
	v_pk_mul_f32 v[130:131], v[6:7], v[14:15] op_sel:[1,0]
	v_mov_b32_e32 v95, v17
	v_pk_fma_f32 v[146:147], v[6:7], v[14:15], v[130:131] op_sel:[0,0,1] op_sel_hi:[1,1,0]
	v_pk_fma_f32 v[6:7], v[6:7], v[14:15], v[130:131] op_sel:[0,0,1] op_sel_hi:[0,1,0] neg_lo:[0,0,1] neg_hi:[0,0,1]
	v_pk_mul_f32 v[14:15], v[92:93], v[12:13] op_sel_hi:[0,1]
	v_pk_fma_f32 v[130:131], v[4:5], v[12:13], v[14:15] op_sel:[0,0,1] op_sel_hi:[1,1,0]
	v_pk_fma_f32 v[4:5], v[4:5], v[12:13], v[14:15] op_sel:[0,0,1] op_sel_hi:[0,1,0] neg_lo:[0,0,1] neg_hi:[0,0,1]
	s_waitcnt lgkmcnt(0)
	v_pk_mul_f32 v[12:13], v[2:3], v[10:11] op_sel:[1,0]
	v_mov_b32_e32 v147, v7
	v_pk_fma_f32 v[14:15], v[2:3], v[10:11], v[12:13] op_sel:[0,0,1] op_sel_hi:[1,1,0]
	v_pk_fma_f32 v[2:3], v[2:3], v[10:11], v[12:13] op_sel:[0,0,1] op_sel_hi:[0,1,0] neg_lo:[0,0,1] neg_hi:[0,0,1]
	v_mov_b32_e32 v15, v3
	v_pk_add_f32 v[2:3], v[8:9], v[98:99] neg_lo:[0,1] neg_hi:[0,1]
	v_pk_add_f32 v[6:7], v[94:95], v[104:105] neg_lo:[0,1] neg_hi:[0,1]
	v_mov_b32_e32 v131, v5
	v_mov_b32_e32 v97, v21
	;; [unrolled: 1-line block ×4, first 2 shown]
	v_pk_fma_f32 v[4:5], v[8:9], 2.0, v[2:3] op_sel_hi:[1,0,1] neg_lo:[0,0,1] neg_hi:[0,0,1]
	v_pk_fma_f32 v[8:9], v[94:95], 2.0, v[6:7] op_sel_hi:[1,0,1] neg_lo:[0,0,1] neg_hi:[0,0,1]
	v_pk_add_f32 v[10:11], v[2:3], v[6:7] op_sel:[0,1] op_sel_hi:[1,0]
	v_pk_add_f32 v[6:7], v[2:3], v[6:7] op_sel:[0,1] op_sel_hi:[1,0] neg_lo:[0,1] neg_hi:[0,1]
	v_pk_add_f32 v[12:13], v[96:97], v[132:133] neg_lo:[0,1] neg_hi:[0,1]
	v_mov_b32_e32 v11, v7
	v_pk_add_f32 v[6:7], v[130:131], v[102:103] neg_lo:[0,1] neg_hi:[0,1]
	v_mov_b32_e32 v145, v19
	v_mov_b32_e32 v141, v27
	;; [unrolled: 1-line block ×3, first 2 shown]
	v_pk_fma_f32 v[16:17], v[96:97], 2.0, v[12:13] op_sel_hi:[1,0,1] neg_lo:[0,0,1] neg_hi:[0,0,1]
	v_pk_add_f32 v[18:19], v[6:7], v[12:13] op_sel:[0,1] op_sel_hi:[1,0]
	v_pk_add_f32 v[12:13], v[6:7], v[12:13] op_sel:[0,1] op_sel_hi:[1,0] neg_lo:[0,1] neg_hi:[0,1]
	v_pk_add_f32 v[20:21], v[144:145], v[136:137] neg_lo:[0,1] neg_hi:[0,1]
	v_mov_b32_e32 v19, v13
	v_pk_add_f32 v[12:13], v[14:15], v[140:141] neg_lo:[0,1] neg_hi:[0,1]
	v_mov_b32_e32 v143, v23
	v_mov_b32_e32 v139, v127
	;; [unrolled: 1-line block ×3, first 2 shown]
	v_pk_fma_f32 v[22:23], v[144:145], 2.0, v[20:21] op_sel_hi:[1,0,1] neg_lo:[0,0,1] neg_hi:[0,0,1]
	v_pk_add_f32 v[24:25], v[12:13], v[20:21] op_sel:[0,1] op_sel_hi:[1,0]
	v_pk_add_f32 v[20:21], v[12:13], v[20:21] op_sel:[0,1] op_sel_hi:[1,0] neg_lo:[0,1] neg_hi:[0,1]
	v_pk_add_f32 v[26:27], v[142:143], v[134:135] neg_lo:[0,1] neg_hi:[0,1]
	v_mov_b32_e32 v25, v21
	v_pk_add_f32 v[20:21], v[146:147], v[138:139] neg_lo:[0,1] neg_hi:[0,1]
	v_pk_fma_f32 v[28:29], v[142:143], 2.0, v[26:27] op_sel_hi:[1,0,1] neg_lo:[0,0,1] neg_hi:[0,0,1]
	v_pk_add_f32 v[94:95], v[20:21], v[26:27] op_sel:[0,1] op_sel_hi:[1,0]
	v_pk_add_f32 v[26:27], v[20:21], v[26:27] op_sel:[0,1] op_sel_hi:[1,0] neg_lo:[0,1] neg_hi:[0,1]
	v_pk_fma_f32 v[2:3], v[2:3], 2.0, v[10:11] op_sel_hi:[1,0,1] neg_lo:[0,0,1] neg_hi:[0,0,1]
	v_mov_b32_e32 v95, v27
	v_pk_fma_f32 v[26:27], v[130:131], 2.0, v[6:7] op_sel_hi:[1,0,1] neg_lo:[0,0,1] neg_hi:[0,0,1]
	v_pk_fma_f32 v[6:7], v[6:7], 2.0, v[18:19] op_sel_hi:[1,0,1] neg_lo:[0,0,1] neg_hi:[0,0,1]
	;; [unrolled: 1-line block ×3, first 2 shown]
	v_pk_mul_f32 v[96:97], v[6:7], s[2:3] op_sel_hi:[1,0]
	v_pk_fma_f32 v[6:7], v[6:7], s[2:3], v[2:3] op_sel_hi:[1,0,1] neg_lo:[1,0,0] neg_hi:[1,0,0]
	v_pk_fma_f32 v[12:13], v[12:13], 2.0, v[24:25] op_sel_hi:[1,0,1] neg_lo:[0,0,1] neg_hi:[0,0,1]
	v_pk_add_f32 v[98:99], v[6:7], v[96:97] op_sel:[0,1] op_sel_hi:[1,0]
	v_pk_add_f32 v[6:7], v[6:7], v[96:97] op_sel:[0,1] op_sel_hi:[1,0] neg_lo:[0,1] neg_hi:[0,1]
	v_pk_fma_f32 v[96:97], v[146:147], 2.0, v[20:21] op_sel_hi:[1,0,1] neg_lo:[0,0,1] neg_hi:[0,0,1]
	v_pk_fma_f32 v[20:21], v[20:21], 2.0, v[94:95] op_sel_hi:[1,0,1] neg_lo:[0,0,1] neg_hi:[0,0,1]
	v_mov_b32_e32 v99, v7
	v_pk_mul_f32 v[100:101], v[20:21], s[2:3] op_sel_hi:[1,0]
	v_pk_fma_f32 v[20:21], v[20:21], s[2:3], v[12:13] op_sel_hi:[1,0,1] neg_lo:[1,0,0] neg_hi:[1,0,0]
	v_pk_fma_f32 v[2:3], v[2:3], 2.0, v[98:99] op_sel_hi:[1,0,1] neg_lo:[0,0,1] neg_hi:[0,0,1]
	v_pk_add_f32 v[102:103], v[20:21], v[100:101] op_sel:[0,1] op_sel_hi:[1,0]
	v_pk_add_f32 v[20:21], v[20:21], v[100:101] op_sel:[0,1] op_sel_hi:[1,0] neg_lo:[0,1] neg_hi:[0,1]
	v_pk_add_f32 v[8:9], v[4:5], v[8:9] neg_lo:[0,1] neg_hi:[0,1]
	v_mov_b32_e32 v103, v21
	v_pk_fma_f32 v[12:13], v[12:13], 2.0, v[102:103] op_sel_hi:[1,0,1] neg_lo:[0,0,1] neg_hi:[0,0,1]
	v_pk_add_f32 v[22:23], v[14:15], v[22:23] neg_lo:[0,1] neg_hi:[0,1]
	v_pk_fma_f32 v[100:101], v[12:13], s[8:9], v[2:3] op_sel_hi:[1,0,1] neg_lo:[1,0,0] neg_hi:[1,0,0]
	v_pk_mul_f32 v[12:13], v[12:13], s[12:13] op_sel_hi:[1,0]
	v_pk_fma_f32 v[4:5], v[4:5], 2.0, v[8:9] op_sel_hi:[1,0,1] neg_lo:[0,0,1] neg_hi:[0,0,1]
	v_pk_add_f32 v[104:105], v[100:101], v[12:13] op_sel:[0,1] op_sel_hi:[1,0]
	v_pk_add_f32 v[12:13], v[100:101], v[12:13] op_sel:[0,1] op_sel_hi:[1,0] neg_lo:[0,1] neg_hi:[0,1]
	v_pk_fma_f32 v[14:15], v[14:15], 2.0, v[22:23] op_sel_hi:[1,0,1] neg_lo:[0,0,1] neg_hi:[0,0,1]
	v_mov_b32_e32 v105, v13
	v_pk_add_f32 v[12:13], v[26:27], v[16:17] neg_lo:[0,1] neg_hi:[0,1]
	v_pk_fma_f32 v[2:3], v[2:3], 2.0, v[104:105] op_sel_hi:[1,0,1] neg_lo:[0,0,1] neg_hi:[0,0,1]
	v_pk_fma_f32 v[16:17], v[26:27], 2.0, v[12:13] op_sel_hi:[1,0,1] neg_lo:[0,0,1] neg_hi:[0,0,1]
	v_pk_add_f32 v[26:27], v[96:97], v[28:29] neg_lo:[0,1] neg_hi:[0,1]
	v_pk_add_f32 v[16:17], v[4:5], v[16:17] neg_lo:[0,1] neg_hi:[0,1]
	v_pk_fma_f32 v[28:29], v[96:97], 2.0, v[26:27] op_sel_hi:[1,0,1] neg_lo:[0,0,1] neg_hi:[0,0,1]
	v_pk_fma_f32 v[4:5], v[4:5], 2.0, v[16:17] op_sel_hi:[1,0,1] neg_lo:[0,0,1] neg_hi:[0,0,1]
	v_pk_add_f32 v[28:29], v[14:15], v[28:29] neg_lo:[0,1] neg_hi:[0,1]
	s_nop 0
	v_pk_fma_f32 v[14:15], v[14:15], 2.0, v[28:29] op_sel_hi:[1,0,1] neg_lo:[0,0,1] neg_hi:[0,0,1]
	s_barrier
	v_pk_add_f32 v[14:15], v[4:5], v[14:15] neg_lo:[0,1] neg_hi:[0,1]
	s_nop 0
	v_pk_fma_f32 v[4:5], v[4:5], 2.0, v[14:15] op_sel_hi:[1,0,1] neg_lo:[0,0,1] neg_hi:[0,0,1]
	ds_write2_b64 v93, v[4:5], v[2:3] offset1:16
	v_pk_add_f32 v[2:3], v[8:9], v[12:13] op_sel:[0,1] op_sel_hi:[1,0]
	v_pk_add_f32 v[4:5], v[8:9], v[12:13] op_sel:[0,1] op_sel_hi:[1,0] neg_lo:[0,1] neg_hi:[0,1]
	v_pk_add_f32 v[12:13], v[22:23], v[26:27] op_sel:[0,1] op_sel_hi:[1,0] neg_lo:[0,1] neg_hi:[0,1]
	v_mov_b32_e32 v3, v5
	v_pk_add_f32 v[4:5], v[22:23], v[26:27] op_sel:[0,1] op_sel_hi:[1,0]
	v_pk_fma_f32 v[8:9], v[8:9], 2.0, v[2:3] op_sel_hi:[1,0,1] neg_lo:[0,0,1] neg_hi:[0,0,1]
	v_mov_b32_e32 v5, v13
	v_pk_fma_f32 v[12:13], v[22:23], 2.0, v[4:5] op_sel_hi:[1,0,1] neg_lo:[0,0,1] neg_hi:[0,0,1]
	s_nop 0
	v_pk_mul_f32 v[22:23], v[12:13], s[2:3] op_sel_hi:[1,0]
	v_pk_fma_f32 v[12:13], v[12:13], s[2:3], v[8:9] op_sel_hi:[1,0,1] neg_lo:[1,0,0] neg_hi:[1,0,0]
	s_nop 0
	v_pk_add_f32 v[26:27], v[12:13], v[22:23] op_sel:[0,1] op_sel_hi:[1,0]
	v_pk_add_f32 v[12:13], v[12:13], v[22:23] op_sel:[0,1] op_sel_hi:[1,0] neg_lo:[0,1] neg_hi:[0,1]
	s_nop 0
	v_mov_b32_e32 v27, v13
	v_pk_mul_f32 v[12:13], v[18:19], s[2:3] op_sel_hi:[1,0]
	v_pk_fma_f32 v[18:19], v[18:19], s[2:3], v[10:11] op_sel_hi:[1,0,1]
	v_pk_fma_f32 v[8:9], v[8:9], 2.0, v[26:27] op_sel_hi:[1,0,1] neg_lo:[0,0,1] neg_hi:[0,0,1]
	v_pk_add_f32 v[22:23], v[18:19], v[12:13] op_sel:[0,1] op_sel_hi:[1,0]
	v_pk_add_f32 v[12:13], v[18:19], v[12:13] op_sel:[0,1] op_sel_hi:[1,0] neg_lo:[0,1] neg_hi:[0,1]
	v_pk_mul_f32 v[18:19], v[94:95], s[2:3] op_sel_hi:[1,0]
	v_pk_fma_f32 v[94:95], v[94:95], s[2:3], v[24:25] op_sel_hi:[1,0,1]
	v_mov_b32_e32 v23, v13
	v_pk_add_f32 v[96:97], v[94:95], v[18:19] op_sel:[0,1] op_sel_hi:[1,0]
	v_pk_add_f32 v[18:19], v[94:95], v[18:19] op_sel:[0,1] op_sel_hi:[1,0] neg_lo:[0,1] neg_hi:[0,1]
	v_pk_fma_f32 v[10:11], v[10:11], 2.0, v[22:23] op_sel_hi:[1,0,1] neg_lo:[0,0,1] neg_hi:[0,0,1]
	v_mov_b32_e32 v97, v19
	v_pk_fma_f32 v[24:25], v[24:25], 2.0, v[96:97] op_sel_hi:[1,0,1] neg_lo:[0,0,1] neg_hi:[0,0,1]
	s_nop 0
	v_pk_fma_f32 v[94:95], v[24:25], s[12:13], v[10:11] op_sel_hi:[1,0,1] neg_lo:[1,0,0] neg_hi:[1,0,0]
	v_pk_mul_f32 v[24:25], v[24:25], s[8:9] op_sel_hi:[1,0]
	s_nop 0
	v_pk_add_f32 v[100:101], v[94:95], v[24:25] op_sel:[0,1] op_sel_hi:[1,0]
	v_pk_add_f32 v[24:25], v[94:95], v[24:25] op_sel:[0,1] op_sel_hi:[1,0] neg_lo:[0,1] neg_hi:[0,1]
	s_nop 0
	v_mov_b32_e32 v101, v25
	v_pk_fma_f32 v[10:11], v[10:11], 2.0, v[100:101] op_sel_hi:[1,0,1] neg_lo:[0,0,1] neg_hi:[0,0,1]
	ds_write2_b64 v93, v[8:9], v[10:11] offset0:32 offset1:48
	v_fmamk_f32 v8, v102, 0x3ec3ef15, v98
	v_fmamk_f32 v9, v21, 0x3ec3ef15, v7
	v_fmac_f32_e32 v8, 0x3f6c835e, v21
	v_pk_add_f32 v[10:11], v[16:17], v[28:29] op_sel:[0,1] op_sel_hi:[1,0]
	v_pk_add_f32 v[20:21], v[16:17], v[28:29] op_sel:[0,1] op_sel_hi:[1,0] neg_lo:[0,1] neg_hi:[0,1]
	v_fmac_f32_e32 v9, 0xbf6c835e, v102
	v_mov_b32_e32 v11, v21
	v_fma_f32 v6, v98, 2.0, -v8
	v_fma_f32 v7, v7, 2.0, -v9
	v_pk_fma_f32 v[16:17], v[16:17], 2.0, v[10:11] op_sel_hi:[1,0,1] neg_lo:[0,0,1] neg_hi:[0,0,1]
	ds_write2_b64 v93, v[16:17], v[6:7] offset0:64 offset1:80
	v_fmamk_f32 v6, v96, 0x3f6c835e, v22
	v_pk_mul_f32 v[16:17], v[4:5], s[2:3] op_sel_hi:[1,0]
	v_pk_fma_f32 v[4:5], v[4:5], s[2:3], v[2:3] op_sel_hi:[1,0,1]
	v_fmamk_f32 v7, v19, 0x3f6c835e, v13
	v_fmac_f32_e32 v6, 0x3ec3ef15, v19
	v_pk_add_f32 v[18:19], v[4:5], v[16:17] op_sel:[0,1] op_sel_hi:[1,0]
	v_pk_add_f32 v[4:5], v[4:5], v[16:17] op_sel:[0,1] op_sel_hi:[1,0] neg_lo:[0,1] neg_hi:[0,1]
	v_fmac_f32_e32 v7, 0xbec3ef15, v96
	v_mov_b32_e32 v19, v5
	v_fma_f32 v12, v22, 2.0, -v6
	v_fma_f32 v13, v13, 2.0, -v7
	v_pk_fma_f32 v[2:3], v[2:3], 2.0, v[18:19] op_sel_hi:[1,0,1] neg_lo:[0,0,1] neg_hi:[0,0,1]
	ds_write2_b64 v93, v[2:3], v[12:13] offset0:96 offset1:112
	ds_write2_b64 v93, v[14:15], v[104:105] offset0:128 offset1:144
	;; [unrolled: 1-line block ×3, first 2 shown]
	v_mad_u64_u32 v[2:3], s[10:11], s6, v90, 0
	ds_write2_b64 v93, v[10:11], v[8:9] offset0:192 offset1:208
	v_mov_b32_e32 v8, v3
	ds_write2_b64 v93, v[18:19], v[6:7] offset0:224 offset1:240
	s_waitcnt lgkmcnt(0)
	s_barrier
	ds_read2st64_b64 v[4:7], v1 offset1:4
	v_mad_u64_u32 v[8:9], s[6:7], s7, v90, v[8:9]
	v_mov_b32_e32 v3, v8
	ds_read2st64_b64 v[8:11], v1 offset0:8 offset1:12
	s_waitcnt lgkmcnt(1)
	v_pk_mul_f32 v[12:13], v[30:31], v[6:7] op_sel:[1,0]
	v_mov_b32_e32 v28, s0
	v_pk_fma_f32 v[18:19], v[30:31], v[6:7], v[12:13] op_sel:[0,0,1] op_sel_hi:[1,1,0]
	v_pk_fma_f32 v[6:7], v[30:31], v[6:7], v[12:13] op_sel:[0,0,1] op_sel_hi:[0,1,0] neg_lo:[0,0,1] neg_hi:[0,0,1]
	v_mov_b32_e32 v19, v7
	s_waitcnt lgkmcnt(0)
	v_pk_mul_f32 v[6:7], v[122:123], v[8:9] op_sel_hi:[0,1]
	v_pk_fma_f32 v[20:21], v[32:33], v[8:9], v[6:7] op_sel:[0,0,1] op_sel_hi:[1,1,0]
	v_pk_fma_f32 v[12:13], v[32:33], v[8:9], v[6:7] op_sel:[0,0,1] op_sel_hi:[0,1,0] neg_lo:[0,0,1] neg_hi:[0,0,1]
	ds_read2st64_b64 v[6:9], v1 offset0:16 offset1:20
	v_mov_b32_e32 v21, v13
	v_pk_mul_f32 v[14:15], v[34:35], v[10:11] op_sel:[1,0]
	v_mov_b32_e32 v29, s1
	v_pk_fma_f32 v[22:23], v[34:35], v[10:11], v[14:15] op_sel:[0,0,1] op_sel_hi:[1,1,0]
	s_waitcnt lgkmcnt(0)
	v_pk_mul_f32 v[12:13], v[120:121], v[6:7] op_sel_hi:[0,1]
	v_pk_fma_f32 v[24:25], v[36:37], v[6:7], v[12:13] op_sel:[0,0,1] op_sel_hi:[1,1,0]
	v_pk_fma_f32 v[12:13], v[36:37], v[6:7], v[12:13] op_sel:[0,0,1] op_sel_hi:[0,1,0] neg_lo:[0,0,1] neg_hi:[0,0,1]
	v_pk_mul_f32 v[6:7], v[38:39], v[8:9] op_sel:[1,0]
	v_pk_fma_f32 v[10:11], v[34:35], v[10:11], v[14:15] op_sel:[0,0,1] op_sel_hi:[0,1,0] neg_lo:[0,0,1] neg_hi:[0,0,1]
	v_pk_fma_f32 v[26:27], v[38:39], v[8:9], v[6:7] op_sel:[0,0,1] op_sel_hi:[1,1,0]
	v_pk_fma_f32 v[14:15], v[38:39], v[8:9], v[6:7] op_sel:[0,0,1] op_sel_hi:[0,1,0] neg_lo:[0,0,1] neg_hi:[0,0,1]
	ds_read2st64_b64 v[6:9], v1 offset0:24 offset1:28
	v_mov_b32_e32 v23, v11
	v_mov_b32_e32 v25, v13
	;; [unrolled: 1-line block ×3, first 2 shown]
	v_lshl_add_u64 v[2:3], v[2:3], 3, v[28:29]
	s_waitcnt lgkmcnt(0)
	v_pk_mul_f32 v[10:11], v[116:117], v[6:7] op_sel_hi:[0,1]
	v_pk_fma_f32 v[30:31], v[40:41], v[6:7], v[10:11] op_sel:[0,0,1] op_sel_hi:[1,1,0]
	v_pk_fma_f32 v[6:7], v[40:41], v[6:7], v[10:11] op_sel:[0,0,1] op_sel_hi:[0,1,0] neg_lo:[0,0,1] neg_hi:[0,0,1]
	ds_read2st64_b64 v[10:13], v1 offset0:32 offset1:36
	v_mov_b32_e32 v31, v7
	v_pk_mul_f32 v[6:7], v[42:43], v[8:9] op_sel:[1,0]
	s_nop 0
	v_pk_fma_f32 v[32:33], v[42:43], v[8:9], v[6:7] op_sel:[0,0,1] op_sel_hi:[1,1,0]
	v_pk_fma_f32 v[14:15], v[42:43], v[8:9], v[6:7] op_sel:[0,0,1] op_sel_hi:[0,1,0] neg_lo:[0,0,1] neg_hi:[0,0,1]
	ds_read2st64_b64 v[6:9], v1 offset0:40 offset1:44
	v_mov_b32_e32 v33, v15
	s_waitcnt lgkmcnt(1)
	v_pk_mul_f32 v[14:15], v[114:115], v[10:11] op_sel_hi:[0,1]
	v_pk_fma_f32 v[34:35], v[44:45], v[10:11], v[14:15] op_sel:[0,0,1] op_sel_hi:[1,1,0]
	v_pk_fma_f32 v[14:15], v[44:45], v[10:11], v[14:15] op_sel:[0,0,1] op_sel_hi:[0,1,0] neg_lo:[0,0,1] neg_hi:[0,0,1]
	v_pk_mul_f32 v[10:11], v[46:47], v[12:13] op_sel:[1,0]
	v_mov_b32_e32 v35, v15
	v_pk_fma_f32 v[36:37], v[46:47], v[12:13], v[10:11] op_sel:[0,0,1] op_sel_hi:[1,1,0]
	v_pk_fma_f32 v[38:39], v[46:47], v[12:13], v[10:11] op_sel:[0,0,1] op_sel_hi:[0,1,0] neg_lo:[0,0,1] neg_hi:[0,0,1]
	ds_read2st64_b64 v[10:13], v1 offset0:48 offset1:52
	s_waitcnt lgkmcnt(1)
	v_pk_mul_f32 v[14:15], v[110:111], v[6:7] op_sel_hi:[0,1]
	v_pk_fma_f32 v[40:41], v[48:49], v[6:7], v[14:15] op_sel:[0,0,1] op_sel_hi:[1,1,0]
	v_pk_fma_f32 v[6:7], v[48:49], v[6:7], v[14:15] op_sel:[0,0,1] op_sel_hi:[0,1,0] neg_lo:[0,0,1] neg_hi:[0,0,1]
	v_mov_b32_e32 v41, v7
	v_pk_mul_f32 v[6:7], v[50:51], v[8:9] op_sel:[1,0]
	ds_read2st64_b64 v[14:17], v1 offset0:56 offset1:60
	v_mov_b32_e32 v37, v39
	v_pk_fma_f32 v[38:39], v[50:51], v[8:9], v[6:7] op_sel:[0,0,1] op_sel_hi:[1,1,0]
	v_pk_fma_f32 v[6:7], v[50:51], v[8:9], v[6:7] op_sel:[0,0,1] op_sel_hi:[0,1,0] neg_lo:[0,0,1] neg_hi:[0,0,1]
	v_mov_b32_e32 v39, v7
	s_waitcnt lgkmcnt(1)
	v_pk_mul_f32 v[6:7], v[112:113], v[10:11] op_sel_hi:[0,1]
	v_pk_fma_f32 v[8:9], v[52:53], v[10:11], v[6:7] op_sel:[0,0,1] op_sel_hi:[1,1,0]
	v_pk_fma_f32 v[6:7], v[52:53], v[10:11], v[6:7] op_sel:[0,0,1] op_sel_hi:[0,1,0] neg_lo:[0,0,1] neg_hi:[0,0,1]
	v_mov_b32_e32 v9, v7
	v_pk_mul_f32 v[6:7], v[54:55], v[12:13] op_sel:[1,0]
	v_pk_add_f32 v[8:9], v[24:25], v[8:9] neg_lo:[0,1] neg_hi:[0,1]
	v_pk_fma_f32 v[10:11], v[54:55], v[12:13], v[6:7] op_sel:[0,0,1] op_sel_hi:[1,1,0]
	v_pk_fma_f32 v[6:7], v[54:55], v[12:13], v[6:7] op_sel:[0,0,1] op_sel_hi:[0,1,0] neg_lo:[0,0,1] neg_hi:[0,0,1]
	v_mov_b32_e32 v11, v7
	s_waitcnt lgkmcnt(0)
	v_pk_mul_f32 v[6:7], v[118:119], v[14:15] op_sel_hi:[0,1]
	v_pk_fma_f32 v[12:13], v[56:57], v[14:15], v[6:7] op_sel:[0,0,1] op_sel_hi:[1,1,0]
	v_pk_fma_f32 v[6:7], v[56:57], v[14:15], v[6:7] op_sel:[0,0,1] op_sel_hi:[0,1,0] neg_lo:[0,0,1] neg_hi:[0,0,1]
	v_mov_b32_e32 v13, v7
	v_pk_mul_f32 v[6:7], v[108:109], v[16:17] op_sel:[1,0]
	v_pk_add_f32 v[12:13], v[30:31], v[12:13] neg_lo:[0,1] neg_hi:[0,1]
	v_pk_fma_f32 v[14:15], v[108:109], v[16:17], v[6:7] op_sel:[0,0,1] op_sel_hi:[1,1,0]
	v_pk_fma_f32 v[6:7], v[108:109], v[16:17], v[6:7] op_sel:[0,0,1] op_sel_hi:[0,1,0] neg_lo:[0,0,1] neg_hi:[0,0,1]
	v_mov_b32_e32 v15, v7
	v_pk_add_f32 v[6:7], v[4:5], v[34:35] neg_lo:[0,1] neg_hi:[0,1]
	v_pk_fma_f32 v[16:17], v[24:25], 2.0, v[8:9] op_sel_hi:[1,0,1] neg_lo:[0,0,1] neg_hi:[0,0,1]
	v_pk_add_f32 v[24:25], v[20:21], v[40:41] neg_lo:[0,1] neg_hi:[0,1]
	v_pk_add_f32 v[34:35], v[18:19], v[36:37] neg_lo:[0,1] neg_hi:[0,1]
	;; [unrolled: 1-line block ×3, first 2 shown]
	v_pk_add_f32 v[38:39], v[6:7], v[8:9] op_sel:[0,1] op_sel_hi:[1,0]
	v_pk_add_f32 v[8:9], v[6:7], v[8:9] op_sel:[0,1] op_sel_hi:[1,0] neg_lo:[0,1] neg_hi:[0,1]
	v_pk_fma_f32 v[30:31], v[30:31], 2.0, v[12:13] op_sel_hi:[1,0,1] neg_lo:[0,0,1] neg_hi:[0,0,1]
	v_mov_b32_e32 v39, v9
	v_pk_add_f32 v[8:9], v[24:25], v[12:13] op_sel:[0,1] op_sel_hi:[1,0]
	v_pk_add_f32 v[12:13], v[24:25], v[12:13] op_sel:[0,1] op_sel_hi:[1,0] neg_lo:[0,1] neg_hi:[0,1]
	v_pk_add_f32 v[10:11], v[26:27], v[10:11] neg_lo:[0,1] neg_hi:[0,1]
	v_mov_b32_e32 v9, v13
	v_pk_fma_f32 v[20:21], v[20:21], 2.0, v[24:25] op_sel_hi:[1,0,1] neg_lo:[0,0,1] neg_hi:[0,0,1]
	v_pk_fma_f32 v[26:27], v[26:27], 2.0, v[10:11] op_sel_hi:[1,0,1] neg_lo:[0,0,1] neg_hi:[0,0,1]
	;; [unrolled: 1-line block ×3, first 2 shown]
	v_pk_add_f32 v[24:25], v[34:35], v[10:11] op_sel:[0,1] op_sel_hi:[1,0]
	v_pk_add_f32 v[10:11], v[34:35], v[10:11] op_sel:[0,1] op_sel_hi:[1,0] neg_lo:[0,1] neg_hi:[0,1]
	v_pk_add_f32 v[14:15], v[32:33], v[14:15] neg_lo:[0,1] neg_hi:[0,1]
	v_mov_b32_e32 v25, v11
	v_pk_fma_f32 v[18:19], v[18:19], 2.0, v[34:35] op_sel_hi:[1,0,1] neg_lo:[0,0,1] neg_hi:[0,0,1]
	v_pk_fma_f32 v[32:33], v[32:33], 2.0, v[14:15] op_sel_hi:[1,0,1] neg_lo:[0,0,1] neg_hi:[0,0,1]
	;; [unrolled: 1-line block ×3, first 2 shown]
	v_pk_add_f32 v[34:35], v[36:37], v[14:15] op_sel:[0,1] op_sel_hi:[1,0]
	v_pk_add_f32 v[14:15], v[36:37], v[14:15] op_sel:[0,1] op_sel_hi:[1,0] neg_lo:[0,1] neg_hi:[0,1]
	v_pk_fma_f32 v[4:5], v[4:5], 2.0, v[6:7] op_sel_hi:[1,0,1] neg_lo:[0,0,1] neg_hi:[0,0,1]
	v_pk_fma_f32 v[6:7], v[6:7], 2.0, v[38:39] op_sel_hi:[1,0,1] neg_lo:[0,0,1] neg_hi:[0,0,1]
	v_mov_b32_e32 v35, v15
	v_pk_fma_f32 v[22:23], v[22:23], 2.0, v[36:37] op_sel_hi:[1,0,1] neg_lo:[0,0,1] neg_hi:[0,0,1]
	v_pk_fma_f32 v[14:15], v[36:37], 2.0, v[34:35] op_sel_hi:[1,0,1] neg_lo:[0,0,1] neg_hi:[0,0,1]
	v_pk_mul_f32 v[36:37], v[12:13], s[2:3] op_sel_hi:[1,0]
	v_pk_fma_f32 v[12:13], v[12:13], s[2:3], v[6:7] op_sel_hi:[1,0,1] neg_lo:[1,0,0] neg_hi:[1,0,0]
	v_pk_add_f32 v[16:17], v[4:5], v[16:17] neg_lo:[0,1] neg_hi:[0,1]
	v_pk_add_f32 v[40:41], v[12:13], v[36:37] op_sel:[0,1] op_sel_hi:[1,0]
	v_pk_add_f32 v[12:13], v[12:13], v[36:37] op_sel:[0,1] op_sel_hi:[1,0] neg_lo:[0,1] neg_hi:[0,1]
	v_pk_mul_f32 v[36:37], v[14:15], s[2:3] op_sel_hi:[1,0]
	v_pk_fma_f32 v[14:15], v[14:15], s[2:3], v[10:11] op_sel_hi:[1,0,1] neg_lo:[1,0,0] neg_hi:[1,0,0]
	v_pk_add_f32 v[30:31], v[20:21], v[30:31] neg_lo:[0,1] neg_hi:[0,1]
	v_pk_add_f32 v[42:43], v[14:15], v[36:37] op_sel:[0,1] op_sel_hi:[1,0]
	v_pk_add_f32 v[14:15], v[14:15], v[36:37] op_sel:[0,1] op_sel_hi:[1,0] neg_lo:[0,1] neg_hi:[0,1]
	v_pk_add_f32 v[26:27], v[18:19], v[26:27] neg_lo:[0,1] neg_hi:[0,1]
	v_pk_add_f32 v[32:33], v[22:23], v[32:33] neg_lo:[0,1] neg_hi:[0,1]
	v_mov_b32_e32 v41, v13
	v_mov_b32_e32 v43, v15
	v_pk_fma_f32 v[4:5], v[4:5], 2.0, v[16:17] op_sel_hi:[1,0,1] neg_lo:[0,0,1] neg_hi:[0,0,1]
	v_pk_fma_f32 v[20:21], v[20:21], 2.0, v[30:31] op_sel_hi:[1,0,1] neg_lo:[0,0,1] neg_hi:[0,0,1]
	;; [unrolled: 1-line block ×6, first 2 shown]
	v_pk_add_f32 v[20:21], v[4:5], v[20:21] neg_lo:[0,1] neg_hi:[0,1]
	v_pk_add_f32 v[22:23], v[18:19], v[22:23] neg_lo:[0,1] neg_hi:[0,1]
	v_pk_fma_f32 v[36:37], v[10:11], s[8:9], v[6:7] op_sel_hi:[1,0,1] neg_lo:[1,0,0] neg_hi:[1,0,0]
	v_pk_mul_f32 v[10:11], v[10:11], s[12:13] op_sel_hi:[1,0]
	v_pk_fma_f32 v[4:5], v[4:5], 2.0, v[20:21] op_sel_hi:[1,0,1] neg_lo:[0,0,1] neg_hi:[0,0,1]
	v_pk_fma_f32 v[18:19], v[18:19], 2.0, v[22:23] op_sel_hi:[1,0,1] neg_lo:[0,0,1] neg_hi:[0,0,1]
	v_pk_add_f32 v[44:45], v[36:37], v[10:11] op_sel:[0,1] op_sel_hi:[1,0]
	v_pk_add_f32 v[10:11], v[36:37], v[10:11] op_sel:[0,1] op_sel_hi:[1,0] neg_lo:[0,1] neg_hi:[0,1]
	v_pk_add_f32 v[18:19], v[4:5], v[18:19] neg_lo:[0,1] neg_hi:[0,1]
	v_mov_b32_e32 v45, v11
	v_pk_fma_f32 v[4:5], v[4:5], 2.0, v[18:19] op_sel_hi:[1,0,1] neg_lo:[0,0,1] neg_hi:[0,0,1]
	v_pk_fma_f32 v[6:7], v[6:7], 2.0, v[44:45] op_sel_hi:[1,0,1] neg_lo:[0,0,1] neg_hi:[0,0,1]
	ds_write2st64_b64 v1, v[4:5], v[6:7] offset1:4
	v_pk_add_f32 v[4:5], v[16:17], v[30:31] op_sel:[0,1] op_sel_hi:[1,0]
	v_pk_add_f32 v[6:7], v[16:17], v[30:31] op_sel:[0,1] op_sel_hi:[1,0] neg_lo:[0,1] neg_hi:[0,1]
	v_fmamk_f32 v10, v42, 0x3ec3ef15, v40
	v_mov_b32_e32 v5, v7
	v_fmamk_f32 v11, v15, 0x3ec3ef15, v13
	v_fmac_f32_e32 v10, 0x3f6c835e, v15
	v_pk_fma_f32 v[6:7], v[16:17], 2.0, v[4:5] op_sel_hi:[1,0,1] neg_lo:[0,0,1] neg_hi:[0,0,1]
	v_pk_add_f32 v[14:15], v[26:27], v[32:33] op_sel:[0,1] op_sel_hi:[1,0]
	v_pk_add_f32 v[16:17], v[26:27], v[32:33] op_sel:[0,1] op_sel_hi:[1,0] neg_lo:[0,1] neg_hi:[0,1]
	v_pk_mul_f32 v[32:33], v[34:35], s[2:3] op_sel_hi:[1,0]
	v_mov_b32_e32 v15, v17
	v_pk_fma_f32 v[16:17], v[26:27], 2.0, v[14:15] op_sel_hi:[1,0,1] neg_lo:[0,0,1] neg_hi:[0,0,1]
	v_pk_fma_f32 v[34:35], v[34:35], s[2:3], v[24:25] op_sel_hi:[1,0,1]
	v_pk_mul_f32 v[26:27], v[16:17], s[2:3] op_sel_hi:[1,0]
	v_pk_fma_f32 v[16:17], v[16:17], s[2:3], v[6:7] op_sel_hi:[1,0,1] neg_lo:[1,0,0] neg_hi:[1,0,0]
	v_pk_add_f32 v[36:37], v[34:35], v[32:33] op_sel:[0,1] op_sel_hi:[1,0]
	v_pk_add_f32 v[30:31], v[16:17], v[26:27] op_sel:[0,1] op_sel_hi:[1,0]
	v_pk_add_f32 v[16:17], v[16:17], v[26:27] op_sel:[0,1] op_sel_hi:[1,0] neg_lo:[0,1] neg_hi:[0,1]
	v_pk_add_f32 v[32:33], v[34:35], v[32:33] op_sel:[0,1] op_sel_hi:[1,0] neg_lo:[0,1] neg_hi:[0,1]
	v_mov_b32_e32 v31, v17
	v_pk_mul_f32 v[16:17], v[8:9], s[2:3] op_sel_hi:[1,0]
	v_pk_fma_f32 v[8:9], v[8:9], s[2:3], v[38:39] op_sel_hi:[1,0,1]
	v_mov_b32_e32 v37, v33
	v_pk_add_f32 v[26:27], v[8:9], v[16:17] op_sel:[0,1] op_sel_hi:[1,0]
	v_pk_add_f32 v[8:9], v[8:9], v[16:17] op_sel:[0,1] op_sel_hi:[1,0] neg_lo:[0,1] neg_hi:[0,1]
	v_pk_fma_f32 v[24:25], v[24:25], 2.0, v[36:37] op_sel_hi:[1,0,1] neg_lo:[0,0,1] neg_hi:[0,0,1]
	v_mov_b32_e32 v27, v9
	v_pk_fma_f32 v[16:17], v[38:39], 2.0, v[26:27] op_sel_hi:[1,0,1] neg_lo:[0,0,1] neg_hi:[0,0,1]
	v_pk_fma_f32 v[6:7], v[6:7], 2.0, v[30:31] op_sel_hi:[1,0,1] neg_lo:[0,0,1] neg_hi:[0,0,1]
	v_pk_fma_f32 v[34:35], v[24:25], s[12:13], v[16:17] op_sel_hi:[1,0,1] neg_lo:[1,0,0] neg_hi:[1,0,0]
	v_pk_mul_f32 v[24:25], v[24:25], s[8:9] op_sel_hi:[1,0]
	v_fmac_f32_e32 v11, 0xbf6c835e, v42
	v_pk_add_f32 v[38:39], v[34:35], v[24:25] op_sel:[0,1] op_sel_hi:[1,0]
	v_pk_add_f32 v[24:25], v[34:35], v[24:25] op_sel:[0,1] op_sel_hi:[1,0] neg_lo:[0,1] neg_hi:[0,1]
	v_fma_f32 v12, v40, 2.0, -v10
	v_mov_b32_e32 v39, v25
	v_pk_fma_f32 v[16:17], v[16:17], 2.0, v[38:39] op_sel_hi:[1,0,1] neg_lo:[0,0,1] neg_hi:[0,0,1]
	ds_write2st64_b64 v1, v[6:7], v[16:17] offset0:8 offset1:12
	v_pk_add_f32 v[6:7], v[20:21], v[22:23] op_sel:[0,1] op_sel_hi:[1,0]
	v_pk_add_f32 v[16:17], v[20:21], v[22:23] op_sel:[0,1] op_sel_hi:[1,0] neg_lo:[0,1] neg_hi:[0,1]
	v_fma_f32 v13, v13, 2.0, -v11
	v_mov_b32_e32 v7, v17
	v_pk_fma_f32 v[16:17], v[20:21], 2.0, v[6:7] op_sel_hi:[1,0,1] neg_lo:[0,0,1] neg_hi:[0,0,1]
	ds_write2st64_b64 v1, v[16:17], v[12:13] offset0:16 offset1:20
	v_pk_mul_f32 v[12:13], v[14:15], s[2:3] op_sel_hi:[1,0]
	v_pk_fma_f32 v[14:15], v[14:15], s[2:3], v[4:5] op_sel_hi:[1,0,1]
	v_fmamk_f32 v24, v36, 0x3f6c835e, v26
	v_fmamk_f32 v25, v33, 0x3f6c835e, v9
	v_pk_add_f32 v[16:17], v[14:15], v[12:13] op_sel:[0,1] op_sel_hi:[1,0]
	v_pk_add_f32 v[12:13], v[14:15], v[12:13] op_sel:[0,1] op_sel_hi:[1,0] neg_lo:[0,1] neg_hi:[0,1]
	v_fmac_f32_e32 v24, 0x3ec3ef15, v33
	v_fmac_f32_e32 v25, 0xbec3ef15, v36
	v_mov_b32_e32 v17, v13
	v_fma_f32 v8, v26, 2.0, -v24
	v_fma_f32 v9, v9, 2.0, -v25
	v_pk_fma_f32 v[4:5], v[4:5], 2.0, v[16:17] op_sel_hi:[1,0,1] neg_lo:[0,0,1] neg_hi:[0,0,1]
	ds_write2st64_b64 v1, v[4:5], v[8:9] offset0:24 offset1:28
	ds_write2st64_b64 v1, v[18:19], v[44:45] offset0:32 offset1:36
	;; [unrolled: 1-line block ×5, first 2 shown]
	s_waitcnt lgkmcnt(0)
	s_barrier
	ds_read2st64_b64 v[4:7], v1 offset1:4
	v_mad_u64_u32 v[8:9], s[0:1], s4, v0, 0
	v_mov_b32_e32 v10, v9
	v_mad_u64_u32 v[10:11], s[0:1], s5, v0, v[10:11]
	v_mov_b32_e32 v9, v10
	v_lshl_add_u64 v[2:3], v[8:9], 3, v[2:3]
	s_waitcnt lgkmcnt(0)
	v_pk_mul_f32 v[8:9], v[58:59], v[4:5] op_sel:[1,0]
	s_mov_b32 s0, 0x39800000
	v_pk_fma_f32 v[10:11], v[58:59], v[4:5], v[8:9] op_sel:[0,0,1] op_sel_hi:[1,1,0]
	v_pk_fma_f32 v[4:5], v[58:59], v[4:5], v[8:9] op_sel:[0,0,1] op_sel_hi:[0,1,0] neg_lo:[0,0,1] neg_hi:[0,0,1]
	v_mov_b32_e32 v11, v5
	v_pk_mul_f32 v[4:5], v[10:11], s[0:1] op_sel_hi:[1,0]
	s_lshl_b64 s[2:3], s[4:5], 11
	global_store_dwordx2 v[2:3], v[4:5], off
	v_lshl_add_u64 v[8:9], v[2:3], 0, s[2:3]
	v_pk_mul_f32 v[2:3], v[60:61], v[6:7] op_sel:[1,0]
	s_nop 0
	v_pk_fma_f32 v[10:11], v[60:61], v[6:7], v[2:3] op_sel:[0,0,1] op_sel_hi:[1,1,0]
	v_pk_fma_f32 v[6:7], v[60:61], v[6:7], v[2:3] op_sel:[0,0,1] op_sel_hi:[0,1,0] neg_lo:[0,0,1] neg_hi:[0,0,1]
	ds_read2st64_b64 v[2:5], v1 offset0:8 offset1:12
	v_mov_b32_e32 v11, v7
	v_pk_mul_f32 v[6:7], v[10:11], s[0:1] op_sel_hi:[1,0]
	global_store_dwordx2 v[8:9], v[6:7], off
	v_lshl_add_u64 v[6:7], v[8:9], 0, s[2:3]
	s_waitcnt lgkmcnt(0)
	v_pk_mul_f32 v[8:9], v[62:63], v[2:3] op_sel:[1,0]
	s_nop 0
	v_pk_fma_f32 v[10:11], v[62:63], v[2:3], v[8:9] op_sel:[0,0,1] op_sel_hi:[1,1,0]
	v_pk_fma_f32 v[2:3], v[62:63], v[2:3], v[8:9] op_sel:[0,0,1] op_sel_hi:[0,1,0] neg_lo:[0,0,1] neg_hi:[0,0,1]
	v_mov_b32_e32 v11, v3
	v_pk_mul_f32 v[2:3], v[10:11], s[0:1] op_sel_hi:[1,0]
	global_store_dwordx2 v[6:7], v[2:3], off
	v_pk_mul_f32 v[2:3], v[66:67], v[4:5] op_sel:[1,0]
	v_lshl_add_u64 v[6:7], v[6:7], 0, s[2:3]
	v_pk_fma_f32 v[8:9], v[66:67], v[4:5], v[2:3] op_sel:[0,0,1] op_sel_hi:[1,1,0]
	v_pk_fma_f32 v[10:11], v[66:67], v[4:5], v[2:3] op_sel:[0,0,1] op_sel_hi:[0,1,0] neg_lo:[0,0,1] neg_hi:[0,0,1]
	ds_read2st64_b64 v[2:5], v1 offset0:16 offset1:20
	v_mov_b32_e32 v9, v11
	v_pk_mul_f32 v[8:9], v[8:9], s[0:1] op_sel_hi:[1,0]
	global_store_dwordx2 v[6:7], v[8:9], off
	v_lshl_add_u64 v[6:7], v[6:7], 0, s[2:3]
	s_waitcnt lgkmcnt(0)
	v_pk_mul_f32 v[8:9], v[64:65], v[2:3] op_sel:[1,0]
	s_nop 0
	v_pk_fma_f32 v[10:11], v[64:65], v[2:3], v[8:9] op_sel:[0,0,1] op_sel_hi:[1,1,0]
	v_pk_fma_f32 v[2:3], v[64:65], v[2:3], v[8:9] op_sel:[0,0,1] op_sel_hi:[0,1,0] neg_lo:[0,0,1] neg_hi:[0,0,1]
	v_mov_b32_e32 v11, v3
	v_pk_mul_f32 v[2:3], v[10:11], s[0:1] op_sel_hi:[1,0]
	global_store_dwordx2 v[6:7], v[2:3], off
	v_pk_mul_f32 v[2:3], v[70:71], v[4:5] op_sel:[1,0]
	v_lshl_add_u64 v[6:7], v[6:7], 0, s[2:3]
	;; [unrolled: 17-line block ×6, first 2 shown]
	v_pk_fma_f32 v[8:9], v[86:87], v[4:5], v[2:3] op_sel:[0,0,1] op_sel_hi:[1,1,0]
	v_pk_fma_f32 v[4:5], v[86:87], v[4:5], v[2:3] op_sel:[0,0,1] op_sel_hi:[0,1,0] neg_lo:[0,0,1] neg_hi:[0,0,1]
	ds_read2st64_b64 v[0:3], v1 offset0:56 offset1:60
	v_mov_b32_e32 v9, v5
	v_pk_mul_f32 v[4:5], v[8:9], s[0:1] op_sel_hi:[1,0]
	global_store_dwordx2 v[6:7], v[4:5], off
	v_lshl_add_u64 v[4:5], v[6:7], 0, s[2:3]
	s_waitcnt lgkmcnt(0)
	v_pk_mul_f32 v[6:7], v[84:85], v[0:1] op_sel:[1,0]
	s_nop 0
	v_pk_fma_f32 v[8:9], v[84:85], v[0:1], v[6:7] op_sel:[0,0,1] op_sel_hi:[1,1,0]
	v_pk_fma_f32 v[0:1], v[84:85], v[0:1], v[6:7] op_sel:[0,0,1] op_sel_hi:[0,1,0] neg_lo:[0,0,1] neg_hi:[0,0,1]
	v_mov_b32_e32 v9, v1
	v_pk_mul_f32 v[0:1], v[8:9], s[0:1] op_sel_hi:[1,0]
	global_store_dwordx2 v[4:5], v[0:1], off
	v_lshl_add_u64 v[0:1], v[4:5], 0, s[2:3]
	v_pk_mul_f32 v[4:5], v[88:89], v[2:3] op_sel:[1,0]
	s_nop 0
	v_pk_fma_f32 v[6:7], v[88:89], v[2:3], v[4:5] op_sel:[0,0,1] op_sel_hi:[1,1,0]
	v_pk_fma_f32 v[2:3], v[88:89], v[2:3], v[4:5] op_sel:[0,0,1] op_sel_hi:[0,1,0] neg_lo:[0,0,1] neg_hi:[0,0,1]
	v_mov_b32_e32 v7, v3
	v_pk_mul_f32 v[2:3], v[6:7], s[0:1] op_sel_hi:[1,0]
	global_store_dwordx2 v[0:1], v[2:3], off
.LBB0_2:
	s_endpgm
	.section	.rodata,"a",@progbits
	.p2align	6, 0x0
	.amdhsa_kernel bluestein_single_back_len4096_dim1_sp_op_CI_CI
		.amdhsa_group_segment_fixed_size 32768
		.amdhsa_private_segment_fixed_size 0
		.amdhsa_kernarg_size 104
		.amdhsa_user_sgpr_count 2
		.amdhsa_user_sgpr_dispatch_ptr 0
		.amdhsa_user_sgpr_queue_ptr 0
		.amdhsa_user_sgpr_kernarg_segment_ptr 1
		.amdhsa_user_sgpr_dispatch_id 0
		.amdhsa_user_sgpr_kernarg_preload_length 0
		.amdhsa_user_sgpr_kernarg_preload_offset 0
		.amdhsa_user_sgpr_private_segment_size 0
		.amdhsa_uses_dynamic_stack 0
		.amdhsa_enable_private_segment 0
		.amdhsa_system_sgpr_workgroup_id_x 1
		.amdhsa_system_sgpr_workgroup_id_y 0
		.amdhsa_system_sgpr_workgroup_id_z 0
		.amdhsa_system_sgpr_workgroup_info 0
		.amdhsa_system_vgpr_workitem_id 0
		.amdhsa_next_free_vgpr 190
		.amdhsa_next_free_sgpr 20
		.amdhsa_accum_offset 192
		.amdhsa_reserve_vcc 1
		.amdhsa_float_round_mode_32 0
		.amdhsa_float_round_mode_16_64 0
		.amdhsa_float_denorm_mode_32 3
		.amdhsa_float_denorm_mode_16_64 3
		.amdhsa_dx10_clamp 1
		.amdhsa_ieee_mode 1
		.amdhsa_fp16_overflow 0
		.amdhsa_tg_split 0
		.amdhsa_exception_fp_ieee_invalid_op 0
		.amdhsa_exception_fp_denorm_src 0
		.amdhsa_exception_fp_ieee_div_zero 0
		.amdhsa_exception_fp_ieee_overflow 0
		.amdhsa_exception_fp_ieee_underflow 0
		.amdhsa_exception_fp_ieee_inexact 0
		.amdhsa_exception_int_div_zero 0
	.end_amdhsa_kernel
	.text
.Lfunc_end0:
	.size	bluestein_single_back_len4096_dim1_sp_op_CI_CI, .Lfunc_end0-bluestein_single_back_len4096_dim1_sp_op_CI_CI
                                        ; -- End function
	.section	.AMDGPU.csdata,"",@progbits
; Kernel info:
; codeLenInByte = 11300
; NumSgprs: 26
; NumVgprs: 190
; NumAgprs: 0
; TotalNumVgprs: 190
; ScratchSize: 0
; MemoryBound: 0
; FloatMode: 240
; IeeeMode: 1
; LDSByteSize: 32768 bytes/workgroup (compile time only)
; SGPRBlocks: 3
; VGPRBlocks: 23
; NumSGPRsForWavesPerEU: 26
; NumVGPRsForWavesPerEU: 190
; AccumOffset: 192
; Occupancy: 2
; WaveLimiterHint : 1
; COMPUTE_PGM_RSRC2:SCRATCH_EN: 0
; COMPUTE_PGM_RSRC2:USER_SGPR: 2
; COMPUTE_PGM_RSRC2:TRAP_HANDLER: 0
; COMPUTE_PGM_RSRC2:TGID_X_EN: 1
; COMPUTE_PGM_RSRC2:TGID_Y_EN: 0
; COMPUTE_PGM_RSRC2:TGID_Z_EN: 0
; COMPUTE_PGM_RSRC2:TIDIG_COMP_CNT: 0
; COMPUTE_PGM_RSRC3_GFX90A:ACCUM_OFFSET: 47
; COMPUTE_PGM_RSRC3_GFX90A:TG_SPLIT: 0
	.text
	.p2alignl 6, 3212836864
	.fill 256, 4, 3212836864
	.type	__hip_cuid_1f72703126a2dc28,@object ; @__hip_cuid_1f72703126a2dc28
	.section	.bss,"aw",@nobits
	.globl	__hip_cuid_1f72703126a2dc28
__hip_cuid_1f72703126a2dc28:
	.byte	0                               ; 0x0
	.size	__hip_cuid_1f72703126a2dc28, 1

	.ident	"AMD clang version 19.0.0git (https://github.com/RadeonOpenCompute/llvm-project roc-6.4.0 25133 c7fe45cf4b819c5991fe208aaa96edf142730f1d)"
	.section	".note.GNU-stack","",@progbits
	.addrsig
	.addrsig_sym __hip_cuid_1f72703126a2dc28
	.amdgpu_metadata
---
amdhsa.kernels:
  - .agpr_count:     0
    .args:
      - .actual_access:  read_only
        .address_space:  global
        .offset:         0
        .size:           8
        .value_kind:     global_buffer
      - .actual_access:  read_only
        .address_space:  global
        .offset:         8
        .size:           8
        .value_kind:     global_buffer
      - .actual_access:  read_only
        .address_space:  global
        .offset:         16
        .size:           8
        .value_kind:     global_buffer
      - .actual_access:  read_only
        .address_space:  global
        .offset:         24
        .size:           8
        .value_kind:     global_buffer
      - .actual_access:  read_only
        .address_space:  global
        .offset:         32
        .size:           8
        .value_kind:     global_buffer
      - .offset:         40
        .size:           8
        .value_kind:     by_value
      - .address_space:  global
        .offset:         48
        .size:           8
        .value_kind:     global_buffer
      - .address_space:  global
        .offset:         56
        .size:           8
        .value_kind:     global_buffer
      - .address_space:  global
        .offset:         64
        .size:           8
        .value_kind:     global_buffer
      - .address_space:  global
        .offset:         72
        .size:           8
        .value_kind:     global_buffer
      - .offset:         80
        .size:           4
        .value_kind:     by_value
      - .address_space:  global
        .offset:         88
        .size:           8
        .value_kind:     global_buffer
      - .address_space:  global
        .offset:         96
        .size:           8
        .value_kind:     global_buffer
    .group_segment_fixed_size: 32768
    .kernarg_segment_align: 8
    .kernarg_segment_size: 104
    .language:       OpenCL C
    .language_version:
      - 2
      - 0
    .max_flat_workgroup_size: 256
    .name:           bluestein_single_back_len4096_dim1_sp_op_CI_CI
    .private_segment_fixed_size: 0
    .sgpr_count:     26
    .sgpr_spill_count: 0
    .symbol:         bluestein_single_back_len4096_dim1_sp_op_CI_CI.kd
    .uniform_work_group_size: 1
    .uses_dynamic_stack: false
    .vgpr_count:     190
    .vgpr_spill_count: 0
    .wavefront_size: 64
amdhsa.target:   amdgcn-amd-amdhsa--gfx950
amdhsa.version:
  - 1
  - 2
...

	.end_amdgpu_metadata
